;; amdgpu-corpus repo=tuanlda78202/gpt-oss-amd kind=compiled arch=gfx950 opt=O3
	.amdgcn_target "amdgcn-amd-amdhsa--gfx950"
	.amdhsa_code_object_version 6
	.section	.text._Z22fa2_decode_mfma_head64I14__hip_bfloat16Lb1ELi16ELi16EEvPKfPKvS4_S2_PKS0_PfiiiiiiiiPKiS9_xPKxS9_S9_i,"axG",@progbits,_Z22fa2_decode_mfma_head64I14__hip_bfloat16Lb1ELi16ELi16EEvPKfPKvS4_S2_PKS0_PfiiiiiiiiPKiS9_xPKxS9_S9_i,comdat
	.protected	_Z22fa2_decode_mfma_head64I14__hip_bfloat16Lb1ELi16ELi16EEvPKfPKvS4_S2_PKS0_PfiiiiiiiiPKiS9_xPKxS9_S9_i ; -- Begin function _Z22fa2_decode_mfma_head64I14__hip_bfloat16Lb1ELi16ELi16EEvPKfPKvS4_S2_PKS0_PfiiiiiiiiPKiS9_xPKxS9_S9_i
	.globl	_Z22fa2_decode_mfma_head64I14__hip_bfloat16Lb1ELi16ELi16EEvPKfPKvS4_S2_PKS0_PfiiiiiiiiPKiS9_xPKxS9_S9_i
	.p2align	8
	.type	_Z22fa2_decode_mfma_head64I14__hip_bfloat16Lb1ELi16ELi16EEvPKfPKvS4_S2_PKS0_PfiiiiiiiiPKiS9_xPKxS9_S9_i,@function
_Z22fa2_decode_mfma_head64I14__hip_bfloat16Lb1ELi16ELi16EEvPKfPKvS4_S2_PKS0_PfiiiiiiiiPKiS9_xPKxS9_S9_i: ; @_Z22fa2_decode_mfma_head64I14__hip_bfloat16Lb1ELi16ELi16EEvPKfPKvS4_S2_PKS0_PfiiiiiiiiPKiS9_xPKxS9_S9_i
; %bb.0:
	s_load_dwordx2 s[12:13], s[0:1], 0x30
	s_load_dwordx2 s[40:41], s[0:1], 0x3c
	v_cmp_gt_u32_e32 vcc, 64, v0
	s_waitcnt lgkmcnt(0)
	s_cmp_lt_i32 s3, s12
	s_cselect_b64 s[4:5], -1, 0
	s_and_b64 s[4:5], vcc, s[4:5]
	s_cmp_gt_i32 s41, 0
	s_cselect_b64 s[8:9], -1, 0
	s_and_b64 s[4:5], s[4:5], s[8:9]
	s_and_saveexec_b64 s[8:9], s[4:5]
	s_cbranch_execz .LBB0_228
; %bb.1:
	s_load_dwordx2 s[8:9], s[0:1], 0x48
	s_mul_i32 s34, s41, s2
	s_waitcnt lgkmcnt(0)
	s_cmp_ge_i32 s34, s9
	s_cbranch_scc1 .LBB0_228
; %bb.2:
	s_mov_b32 s6, s3
	s_load_dwordx4 s[20:23], s[0:1], 0x50
	s_load_dwordx2 s[14:15], s[0:1], 0x78
	s_load_dwordx4 s[16:19], s[0:1], 0x68
	s_load_dwordx2 s[10:11], s[0:1], 0x0
	s_ashr_i32 s7, s3, 31
	s_lshl_b64 s[24:25], s[6:7], 2
	s_waitcnt lgkmcnt(0)
	s_add_u32 s4, s20, s24
	s_addc_u32 s5, s21, s25
	s_ashr_i32 s21, s8, 31
	s_mov_b32 s20, s8
	s_lshl_b64 s[26:27], s[20:21], 2
	s_add_u32 s14, s14, s26
	s_addc_u32 s15, s15, s27
	s_lshl_b64 s[20:21], s[20:21], 3
	s_add_u32 s16, s16, s20
	s_addc_u32 s17, s17, s21
	s_add_u32 s18, s18, s26
	s_addc_u32 s19, s19, s27
	;; [unrolled: 2-line block ×3, first 2 shown]
	v_cmp_gt_u32_e64 s[30:31], 16, v0
	s_and_saveexec_b64 s[22:23], s[30:31]
; %bb.3:
	v_lshlrev_b32_e32 v1, 2, v0
	v_mov_b32_e32 v2, 0xff800000
	v_mov_b32_e32 v3, 0
	v_add_u32_e32 v1, 0x1000, v1
	ds_write2_b32 v1, v3, v2 offset0:144 offset1:160
; %bb.4:
	s_or_b64 exec, exec, s[22:23]
	s_mul_hi_i32 s43, s6, s9
	s_mul_i32 s42, s6, s9
	v_and_b32_e32 v50, 15, v0
	s_lshl_b64 s[6:7], s[42:43], 8
	v_rsq_f32_e32 v2, 0x42800000
	v_add_u32_e32 v4, s34, v50
	s_add_u32 s6, s10, s6
	v_ashrrev_i32_e32 v5, 31, v4
	v_lshrrev_b32_e32 v22, 2, v0
	s_addc_u32 s7, s11, s7
	v_lshlrev_b64 v[4:5], 8, v[4:5]
	v_and_b32_e32 v51, 12, v22
	v_cmp_gt_u32_e64 s[28:29], s41, v50
	v_lshl_add_u64 v[4:5], s[6:7], 0, v[4:5]
	v_mov_b32_e32 v26, 0
	v_lshlrev_b32_e32 v24, 2, v51
	v_mov_b32_e32 v28, 0
	v_mov_b32_e32 v29, 0
	s_waitcnt lgkmcnt(0)
	s_barrier
	s_and_saveexec_b64 s[6:7], s[28:29]
	s_cbranch_execz .LBB0_6
; %bb.5:
	v_mov_b32_e32 v25, 0
	v_lshl_add_u64 v[6:7], v[4:5], 0, v[24:25]
	v_lshl_or_b32 v10, v22, 2, 12
	v_mov_b32_e32 v11, v25
	global_load_dwordx3 v[6:8], v[6:7], off
	v_lshl_add_u64 v[10:11], v[4:5], 0, v[10:11]
	global_load_dword v9, v[10:11], off
	s_waitcnt vmcnt(1)
	v_pk_mul_f32 v[6:7], v[2:3], v[6:7] op_sel_hi:[0,1]
	v_cvt_pk_bf16_f32 v28, v6, v7
	s_waitcnt vmcnt(0)
	v_pk_mul_f32 v[6:7], v[2:3], v[8:9] op_sel_hi:[0,1]
	v_cvt_pk_bf16_f32 v29, v6, v7
.LBB0_6:
	s_or_b64 exec, exec, s[6:7]
	v_mov_b32_e32 v27, 0
	s_and_saveexec_b64 s[6:7], s[28:29]
	s_cbranch_execz .LBB0_8
; %bb.7:
	v_mov_b32_e32 v25, 0
	v_mov_b32_e32 v1, 0x4c
	v_lshl_add_u64 v[6:7], v[4:5], 0, v[24:25]
	v_lshl_or_b32 v10, v22, 2, v1
	v_mov_b32_e32 v11, v25
	global_load_dwordx3 v[6:8], v[6:7], off offset:64
	v_lshl_add_u64 v[10:11], v[4:5], 0, v[10:11]
	global_load_dword v9, v[10:11], off
	s_waitcnt vmcnt(1)
	v_pk_mul_f32 v[6:7], v[2:3], v[6:7] op_sel_hi:[0,1]
	v_cvt_pk_bf16_f32 v26, v6, v7
	s_waitcnt vmcnt(0)
	v_pk_mul_f32 v[6:7], v[2:3], v[8:9] op_sel_hi:[0,1]
	v_cvt_pk_bf16_f32 v27, v6, v7
.LBB0_8:
	s_or_b64 exec, exec, s[6:7]
	v_mov_b32_e32 v30, 0
	v_mov_b32_e32 v32, 0
	;; [unrolled: 1-line block ×3, first 2 shown]
	s_and_saveexec_b64 s[6:7], s[28:29]
	s_cbranch_execz .LBB0_10
; %bb.9:
	v_mov_b32_e32 v25, 0
	v_mov_b32_e32 v1, 0x8c
	v_lshl_add_u64 v[6:7], v[4:5], 0, v[24:25]
	v_lshl_or_b32 v10, v22, 2, v1
	v_mov_b32_e32 v11, v25
	global_load_dwordx3 v[6:8], v[6:7], off offset:128
	v_lshl_add_u64 v[10:11], v[4:5], 0, v[10:11]
	global_load_dword v9, v[10:11], off
	s_waitcnt vmcnt(1)
	v_pk_mul_f32 v[6:7], v[2:3], v[6:7] op_sel_hi:[0,1]
	v_cvt_pk_bf16_f32 v32, v6, v7
	s_waitcnt vmcnt(0)
	v_pk_mul_f32 v[6:7], v[2:3], v[8:9] op_sel_hi:[0,1]
	v_cvt_pk_bf16_f32 v33, v6, v7
.LBB0_10:
	s_or_b64 exec, exec, s[6:7]
	s_load_dword s35, s[4:5], 0x0
	v_mov_b32_e32 v31, 0
	s_and_saveexec_b64 s[4:5], s[28:29]
	s_cbranch_execz .LBB0_12
; %bb.11:
	v_mov_b32_e32 v25, 0
	v_mov_b32_e32 v1, 0xcc
	v_lshl_add_u64 v[6:7], v[4:5], 0, v[24:25]
	v_lshl_or_b32 v10, v22, 2, v1
	v_mov_b32_e32 v11, v25
	global_load_dwordx3 v[6:8], v[6:7], off offset:192
	v_lshl_add_u64 v[4:5], v[4:5], 0, v[10:11]
	global_load_dword v5, v[4:5], off
	s_waitcnt vmcnt(1)
	v_mov_b32_e32 v4, v8
	v_pk_mul_f32 v[6:7], v[2:3], v[6:7] op_sel_hi:[0,1]
	s_waitcnt vmcnt(0)
	v_pk_mul_f32 v[2:3], v[2:3], v[4:5] op_sel_hi:[0,1]
	v_cvt_pk_bf16_f32 v30, v6, v7
	v_cvt_pk_bf16_f32 v31, v2, v3
.LBB0_12:
	s_or_b64 exec, exec, s[4:5]
	s_load_dwordx4 s[36:39], s[0:1], 0x20
	s_min_u32 s33, s41, 16
	s_mov_b32 s58, 0
	s_waitcnt lgkmcnt(0)
	s_cmp_gt_i32 s35, -1
	v_cmp_gt_u32_e64 s[4:5], s41, v51
	v_cmp_eq_u32_e64 s[6:7], 0, v50
	v_or_b32_e32 v53, 1, v51
	v_or_b32_e32 v52, 2, v51
	;; [unrolled: 1-line block ×3, first 2 shown]
	s_cbranch_scc0 .LBB0_177
; %bb.13:
	s_load_dwordx4 s[8:11], s[0:1], 0x8
	s_load_dwordx2 s[22:23], s[0:1], 0x18
	s_load_dword s3, s[0:1], 0x80
	s_load_dwordx2 s[24:25], s[16:17], 0x0
	s_load_dword s12, s[14:15], 0x0
	s_load_dword s59, s[18:19], 0x0
	;; [unrolled: 1-line block ×3, first 2 shown]
	s_waitcnt lgkmcnt(0)
	s_add_i32 s0, s3, -1
	s_cmp_lt_u32 s0, 16
	s_cselect_b32 s60, s3, 16
	s_add_i32 s0, s59, -1
	s_add_i32 s61, s35, 1
	s_and_b32 s0, s59, s0
	s_cmp_lg_u32 s0, 0
	s_cselect_b64 s[44:45], -1, 0
	s_ashr_i32 s0, s26, 31
	s_mul_i32 s3, s59, s40
	s_mul_hi_i32 s1, s59, s40
	s_mul_i32 s0, s3, s0
	s_mul_hi_u32 s16, s3, s26
	s_add_i32 s0, s16, s0
	s_mul_i32 s1, s1, s26
	s_ashr_i32 s15, s40, 31
	s_add_i32 s1, s0, s1
	s_mul_i32 s3, s3, s26
	s_add_u32 s0, s3, s24
	s_addc_u32 s1, s1, s25
	s_lshl_b64 s[16:17], s[0:1], 1
	v_mov_b32_e32 v7, 0x800
	s_add_u32 s0, s8, s16
	v_lshl_or_b32 v7, v50, 5, v7
	v_lshlrev_b32_e32 v8, 1, v51
	v_lshlrev_b32_e32 v9, 1, v25
	s_addc_u32 s1, s9, s17
	v_or_b32_e32 v56, v7, v8
	v_add_u32_e32 v57, v7, v9
	v_lshlrev_b32_e32 v7, 5, v0
	s_add_u32 s26, s10, s16
	v_or_b32_e32 v10, 0x600, v7
	s_mov_b32 s14, s40
	s_addc_u32 s27, s11, s17
	s_ashr_i32 s3, s2, 31
	v_mbcnt_lo_u32_b32 v2, -1, 0
	v_add_u32_e32 v10, 0x800, v10
	v_add_u32_e32 v60, 0x800, v7
	v_lshlrev_b32_e32 v7, 1, v22
	s_lshl_b64 s[46:47], s[2:3], 7
	s_lshl_b64 s[48:49], s[14:15], 1
	v_lshlrev_b32_e32 v1, 7, v50
	v_mbcnt_hi_u32_b32 v2, -1, v2
	v_or_b32_e32 v58, v10, v8
	v_add_u32_e32 v59, v10, v9
	v_or_b32_e32 v10, 38, v7
	s_cmp_lg_u32 s12, 0
	v_bitop3_b32 v4, v2, 15, v2 bitop3:0xc
	v_add_u32_e32 v63, v1, v10
	v_or_b32_e32 v10, 0x46, v7
	v_or_b32_e32 v7, 0x66, v7
	s_cselect_b64 s[50:51], -1, 0
	s_ashr_i32 s2, s13, 31
	v_or_b32_e32 v61, v1, v8
	v_add_u32_e32 v62, v1, v9
	v_add_u32_e32 v64, v1, v10
	v_add_u32_e32 v65, v1, v7
	v_bitop3_b32 v1, v2, 8, 15 bitop3:8
	v_cmp_gt_u32_e32 vcc, 4, v4
	s_mul_hi_u32 s3, s35, s13
	s_mul_i32 s2, s35, s2
	v_and_b32_e32 v3, 15, v2
	v_add_lshl_u32 v66, v1, v2, 2
	v_cndmask_b32_e64 v1, 4, 0, vcc
	v_cmp_gt_u32_e32 vcc, 2, v4
	s_add_i32 s3, s3, s2
	s_mul_i32 s2, s35, s13
	v_add_lshl_u32 v67, v1, v2, 2
	v_cndmask_b32_e64 v1, 2, 0, vcc
	v_cmp_ne_u32_e32 vcc, 15, v3
	s_add_i32 s40, s59, 0x7fffffff
	s_lshl_b64 s[2:3], s[2:3], 2
	v_add_lshl_u32 v68, v1, v2, 2
	v_addc_co_u32_e32 v1, vcc, 0, v2, vcc
	s_add_u32 s52, s22, s2
	v_lshlrev_b32_e32 v69, 2, v1
	v_lshlrev_b32_e32 v1, 2, v22
	s_addc_u32 s53, s23, s3
	v_add_u32_e32 v70, 0x1200, v1
	v_add_u32_e32 v71, 0x1280, v1
	v_lshlrev_b32_e32 v1, 2, v25
	s_abs_i32 s62, s59
	v_add_u32_e32 v72, 0x1280, v1
	v_add_u32_e32 v73, 0x1300, v1
	;; [unrolled: 1-line block ×5, first 2 shown]
	v_cvt_f32_u32_e32 v1, s62
	v_lshlrev_b32_e32 v5, 2, v2
	s_movk_i32 s2, 0x100
	v_and_b32_e32 v55, 0x1c0, v5
	v_rcp_iflag_f32_e32 v1, v1
	v_mov_b32_e32 v5, 0x1000
	v_cmp_gt_u32_e64 s[8:9], s2, v0
	s_sub_i32 s2, 0, s62
	v_mul_f32_e32 v1, 0x4f7ffffe, v1
	v_cvt_u32_f32_e32 v2, v1
	v_lshl_or_b32 v5, v50, 1, v5
	v_mov_b32_e32 v36, 0
	v_mov_b32_e32 v23, 0x12c0
	v_mul_lo_u32 v3, s2, v2
	v_mad_u32_u24 v6, v50, 30, v5
	v_lshlrev_b32_e32 v34, 1, v0
	v_mov_b32_e32 v35, v36
	v_mul_hi_u32 v3, v2, v3
	v_lshl_or_b32 v54, v50, 2, v23
	v_cmp_le_u32_e64 s[10:11], s41, v51
	v_cmp_gt_u32_e64 s[12:13], s33, v53
	v_cmp_le_u32_e64 s[14:15], s33, v53
	v_cmp_gt_u32_e64 s[16:17], s33, v52
	;; [unrolled: 2-line block ×4, first 2 shown]
	v_lshl_or_b32 v77, v51, 5, v5
	v_lshl_add_u32 v78, v25, 5, v5
	v_add_u32_e32 v79, v6, v8
	v_add_u32_e32 v80, v6, v9
	s_mov_b32 s63, s48
	s_mov_b32 s64, s49
	;; [unrolled: 1-line block ×4, first 2 shown]
	v_or_b32_e32 v1, 64, v0
	v_add_u32_e32 v81, v2, v3
	s_mov_b32 s65, 0x5040100
	s_mov_b32 s66, 0xff800000
	;; [unrolled: 1-line block ×5, first 2 shown]
	v_mov_b32_e32 v14, 0
	v_mov_b32_e32 v15, v36
	v_mov_b32_e32 v16, v36
	v_mov_b32_e32 v17, v36
	v_mov_b32_e32 v2, 0
	v_mov_b32_e32 v3, v36
	v_mov_b32_e32 v4, v36
	v_mov_b32_e32 v5, v36
	v_mov_b32_e32 v6, 0
	v_mov_b32_e32 v7, v36
	v_mov_b32_e32 v8, v36
	v_mov_b32_e32 v9, v36
	v_mov_b32_e32 v10, 0
	v_mov_b32_e32 v11, v36
	v_mov_b32_e32 v12, v36
	v_mov_b32_e32 v13, v36
	v_or_b32_e32 v82, 0x1200, v24
	v_or_b32_e32 v83, 0x1280, v24
	;; [unrolled: 1-line block ×5, first 2 shown]
	v_lshl_add_u64 v[38:39], s[0:1], 0, v[34:35]
	v_lshl_add_u64 v[40:41], s[26:27], 0, v[34:35]
	s_branch .LBB0_15
.LBB0_14:                               ;   in Loop: Header=BB0_15 Depth=1
	s_or_b64 exec, exec, s[0:1]
	v_mul_f32_e32 v14, v14, v48
	v_mul_f32_e32 v2, v2, v48
	;; [unrolled: 1-line block ×16, first 2 shown]
	v_mfma_f32_16x16x16_bf16 v[14:17], v[18:19], v[20:21], v[14:17]
	s_add_i32 s69, s69, s60
	s_add_i32 s58, s58, 1
	s_sub_i32 s68, s68, s60
	v_mfma_f32_16x16x16_bf16 v[2:5], v[18:19], v[42:43], v[2:5]
	s_cmp_gt_i32 s69, s35
	s_barrier
	v_mfma_f32_16x16x16_bf16 v[6:9], v[18:19], v[44:45], v[6:9]
	v_mfma_f32_16x16x16_bf16 v[10:13], v[18:19], v[46:47], v[10:13]
	s_cbranch_scc1 .LBB0_178
.LBB0_15:                               ; =>This Loop Header: Depth=1
                                        ;     Child Loop BB0_30 Depth 2
                                        ;     Child Loop BB0_36 Depth 2
	s_sub_i32 s0, s61, s69
	s_min_i32 s70, s0, s60
	v_cmp_le_u32_e64 s[2:3], s70, v50
	v_cmp_gt_u32_e64 s[26:27], s70, v50
	v_add_u32_e32 v42, s69, v50
	s_mov_b64 s[56:57], 0
                                        ; implicit-def: $vgpr18
	s_and_saveexec_b64 s[0:1], s[26:27]
	s_xor_b64 s[0:1], exec, s[0:1]
	s_cbranch_execz .LBB0_57
; %bb.16:                               ;   in Loop: Header=BB0_15 Depth=1
	s_andn2_b64 vcc, exec, s[50:51]
	v_mov_b32_e32 v18, v42
	s_cbranch_vccnz .LBB0_23
; %bb.17:                               ;   in Loop: Header=BB0_15 Depth=1
	s_mov_b64 s[56:57], -1
	s_and_b64 vcc, exec, s[44:45]
                                        ; implicit-def: $vgpr18
	s_cbranch_vccz .LBB0_21
; %bb.18:                               ;   in Loop: Header=BB0_15 Depth=1
	v_cmp_le_i32_e32 vcc, s59, v42
	v_mov_b32_e32 v18, v42
	s_and_saveexec_b64 s[56:57], vcc
; %bb.19:                               ;   in Loop: Header=BB0_15 Depth=1
	v_mul_hi_u32 v18, v42, v81
	v_mul_lo_u32 v18, v18, s62
	v_sub_u32_e32 v18, v42, v18
	v_subrev_u32_e32 v19, s62, v18
	v_cmp_le_u32_e32 vcc, s62, v18
	s_nop 1
	v_cndmask_b32_e32 v18, v18, v19, vcc
	v_subrev_u32_e32 v19, s62, v18
	v_cmp_le_u32_e32 vcc, s62, v18
	s_nop 1
	v_cndmask_b32_e32 v18, v18, v19, vcc
; %bb.20:                               ;   in Loop: Header=BB0_15 Depth=1
	s_or_b64 exec, exec, s[56:57]
	s_mov_b64 s[56:57], 0
.LBB0_21:                               ;   in Loop: Header=BB0_15 Depth=1
	s_andn2_b64 vcc, exec, s[56:57]
	s_cbranch_vccnz .LBB0_23
; %bb.22:                               ;   in Loop: Header=BB0_15 Depth=1
	v_and_b32_e32 v18, s40, v42
.LBB0_23:                               ;   in Loop: Header=BB0_15 Depth=1
	s_and_b64 s[56:57], s[30:31], exec
	s_andn2_saveexec_b64 s[0:1], s[0:1]
	s_cbranch_execnz .LBB0_58
.LBB0_24:                               ;   in Loop: Header=BB0_15 Depth=1
	s_or_b64 exec, exec, s[0:1]
	s_and_saveexec_b64 s[0:1], s[56:57]
.LBB0_25:                               ;   in Loop: Header=BB0_15 Depth=1
	ds_write_b32 v54, v18
.LBB0_26:                               ;   in Loop: Header=BB0_15 Depth=1
	s_or_b64 exec, exec, s[0:1]
	s_min_u32 s71, s70, 16
	s_lshl_b32 s72, s71, 6
	v_cmp_gt_u32_e32 vcc, s72, v0
	s_waitcnt lgkmcnt(0)
	s_barrier
	s_and_saveexec_b64 s[0:1], vcc
	s_cbranch_execz .LBB0_37
; %bb.27:                               ;   in Loop: Header=BB0_15 Depth=1
	s_mul_i32 s56, s60, s58
	s_sub_i32 s56, s61, s56
	s_min_i32 s73, s60, s56
	s_mov_b64 s[56:57], -1
	s_cmp_eq_u32 s73, 1
	v_mov_b32_e32 v18, v0
	s_cbranch_scc1 .LBB0_34
; %bb.28:                               ;   in Loop: Header=BB0_15 Depth=1
	s_min_u32 s56, s73, 16
	s_add_i32 s56, s56, -1
	s_and_b32 s56, s56, 0x3ffffff
	s_add_i32 s57, s56, -1
	s_cmp_lt_u32 s57, 2
	v_mov_b64_e32 v[18:19], v[0:1]
	s_cbranch_scc1 .LBB0_31
; %bb.29:                               ;   in Loop: Header=BB0_15 Depth=1
	s_min_i32 s73, s60, s68
	s_min_u32 s73, s73, 16
	s_add_i32 s73, s73, -1
	s_and_b32 s73, s73, 0x3ffffff
	s_add_i32 s73, s73, -1
	s_lshr_b32 s73, s73, 1
	s_add_i32 s73, s73, 1
	s_and_b32 s73, s73, -2
	v_mov_b64_e32 v[18:19], v[0:1]
.LBB0_30:                               ;   Parent Loop BB0_15 Depth=1
                                        ; =>  This Inner Loop Header: Depth=2
	v_lshrrev_b32_e32 v35, 6, v18
	v_add_u32_e32 v37, 0x80, v18
	v_lshl_add_u32 v43, v35, 2, v23
	v_lshrrev_b32_e32 v37, 6, v37
	ds_read2_b32 v[46:47], v43 offset1:1
	v_lshl_add_u32 v43, v37, 2, v23
	ds_read2_b32 v[48:49], v43 offset1:1
	v_mov_b64_e32 v[20:21], s[54:55]
	v_mov_b64_e32 v[44:45], s[46:47]
	s_waitcnt lgkmcnt(1)
	v_ashrrev_i32_e32 v43, 31, v46
	v_ashrrev_i32_e32 v87, 31, v47
	v_mad_u64_u32 v[88:89], s[74:75], s63, v47, v[20:21]
	v_mul_lo_u32 v47, s64, v47
	v_mad_u64_u32 v[90:91], s[74:75], s48, v46, v[44:45]
	v_mul_lo_u32 v46, s49, v46
	v_mul_lo_u32 v87, s63, v87
	;; [unrolled: 1-line block ×3, first 2 shown]
	s_waitcnt lgkmcnt(0)
	v_ashrrev_i32_e32 v92, 31, v48
	v_ashrrev_i32_e32 v93, 31, v49
	v_mad_u64_u32 v[20:21], s[74:75], s63, v49, v[20:21]
	v_mul_lo_u32 v94, s64, v49
	v_mad_u64_u32 v[44:45], s[74:75], s48, v48, v[44:45]
	v_mul_lo_u32 v95, s49, v48
	v_add3_u32 v89, v47, v89, v87
	v_add3_u32 v91, v46, v91, v43
	v_mul_lo_u32 v43, s63, v93
	v_mul_lo_u32 v87, s48, v92
	v_lshl_add_u64 v[46:47], v[38:39], 0, v[90:91]
	v_lshl_add_u64 v[48:49], v[38:39], 0, v[88:89]
	;; [unrolled: 1-line block ×4, first 2 shown]
	v_add3_u32 v21, v94, v21, v43
	v_add3_u32 v45, v95, v45, v87
	global_load_ushort v43, v[46:47], off
	global_load_ushort v87, v[48:49], off
	s_nop 0
	global_load_ushort v90, v[90:91], off
	s_nop 0
	global_load_ushort v88, v[88:89], off
	v_lshl_add_u64 v[46:47], v[38:39], 0, v[44:45]
	v_lshl_add_u64 v[48:49], v[38:39], 0, v[20:21]
	;; [unrolled: 1-line block ×4, first 2 shown]
	global_load_ushort v44, v[44:45], off
	s_nop 0
	global_load_ushort v20, v[20:21], off
	s_nop 0
	global_load_ushort v21, v[46:47], off
	global_load_ushort v45, v[48:49], off
	v_lshlrev_b32_e32 v46, 1, v19
	s_add_i32 s73, s73, -2
	v_and_b32_e32 v48, 0xffffff80, v46
	v_add_u32_e32 v46, 0x100, v46
	v_add_u32_e32 v19, 0x100, v19
	;; [unrolled: 1-line block ×3, first 2 shown]
	v_lshl_add_u32 v47, v35, 7, v34
	s_cmp_lg_u32 s73, 0
	v_lshl_add_u32 v49, v37, 7, v34
	v_and_b32_e32 v46, 0xffffff80, v46
	v_lshl_add_u32 v35, v35, 1, v60
	v_add_u32_e32 v48, v34, v48
	v_lshl_add_u32 v37, v37, 1, v60
	v_add_u32_e32 v46, v34, v46
	s_waitcnt vmcnt(4)
	v_perm_b32 v88, v88, v90, s65
	ds_write_b16 v47, v43
	ds_write_b16 v48, v87
	ds_write_b32 v35, v88
	s_waitcnt vmcnt(2)
	v_perm_b32 v20, v20, v44, s65
	s_waitcnt vmcnt(1)
	ds_write_b16 v49, v21
	s_waitcnt vmcnt(0)
	ds_write_b16 v46, v45
	ds_write_b32 v37, v20
	s_cbranch_scc1 .LBB0_30
.LBB0_31:                               ;   in Loop: Header=BB0_15 Depth=1
	s_bitcmp1_b32 s57, 1
	s_cbranch_scc1 .LBB0_33
; %bb.32:                               ;   in Loop: Header=BB0_15 Depth=1
	v_lshrrev_b32_e32 v18, 6, v18
	v_lshl_add_u32 v20, v18, 2, v23
	ds_read2_b32 v[20:21], v20 offset1:1
	v_mov_b32_e32 v44, s54
	v_mov_b32_e32 v45, s55
	;; [unrolled: 1-line block ×4, first 2 shown]
	s_waitcnt lgkmcnt(0)
	v_ashrrev_i32_e32 v37, 31, v21
	v_ashrrev_i32_e32 v35, 31, v20
	v_mul_lo_u32 v37, s63, v37
	v_mad_u64_u32 v[44:45], s[74:75], s63, v21, v[44:45]
	v_mul_lo_u32 v21, s64, v21
	v_add3_u32 v45, v21, v45, v37
	v_mul_lo_u32 v21, s48, v35
	v_mad_u64_u32 v[46:47], s[74:75], s48, v20, v[46:47]
	v_mul_lo_u32 v20, s49, v20
	v_add3_u32 v47, v20, v47, v21
	v_lshl_add_u64 v[20:21], v[38:39], 0, v[46:47]
	v_lshl_add_u64 v[46:47], v[40:41], 0, v[46:47]
	v_lshl_add_u64 v[48:49], v[38:39], 0, v[44:45]
	v_lshl_add_u64 v[44:45], v[40:41], 0, v[44:45]
	global_load_ushort v35, v[46:47], off
	global_load_ushort v37, v[44:45], off
	s_nop 0
	global_load_ushort v20, v[20:21], off
	s_nop 0
	global_load_ushort v21, v[48:49], off
	v_lshlrev_b32_e32 v19, 1, v19
	v_lshl_add_u32 v43, v18, 7, v34
	v_and_b32_e32 v19, 0xffffff80, v19
	v_lshl_add_u32 v18, v18, 1, v60
	v_add_u32_e32 v19, v34, v19
	s_waitcnt vmcnt(1)
	ds_write_b16 v43, v20
	s_waitcnt vmcnt(0)
	ds_write_b16 v19, v21
	v_perm_b32 v35, v37, v35, s65
	ds_write_b32 v18, v35
.LBB0_33:                               ;   in Loop: Header=BB0_15 Depth=1
	s_add_i32 s56, s56, 1
	s_and_b32 s57, s56, 0x7fffffe
	s_cmp_lg_u32 s56, s57
	v_lshl_or_b32 v18, s57, 6, v0
	s_cselect_b64 s[56:57], -1, 0
.LBB0_34:                               ;   in Loop: Header=BB0_15 Depth=1
	s_and_b64 vcc, exec, s[56:57]
	s_cbranch_vccz .LBB0_37
; %bb.35:                               ;   in Loop: Header=BB0_15 Depth=1
	v_lshrrev_b32_e32 v21, 6, v18
	v_lshl_add_u32 v19, v21, 7, v34
	v_lshl_add_u32 v20, v21, 1, v60
	;; [unrolled: 1-line block ×3, first 2 shown]
	s_mov_b64 s[56:57], 0
.LBB0_36:                               ;   Parent Loop BB0_15 Depth=1
                                        ; =>  This Inner Loop Header: Depth=2
	ds_read_b32 v35, v21
	v_mov_b64_e32 v[44:45], s[46:47]
	v_add_u32_e32 v18, 64, v18
	v_cmp_le_u32_e32 vcc, s72, v18
	v_add_u32_e32 v21, 4, v21
	s_waitcnt lgkmcnt(0)
	v_ashrrev_i32_e32 v37, 31, v35
	v_mad_u64_u32 v[44:45], s[74:75], s48, v35, v[44:45]
	v_mul_lo_u32 v35, s49, v35
	v_mul_lo_u32 v37, s48, v37
	v_add3_u32 v45, v35, v45, v37
	v_lshl_add_u64 v[46:47], v[38:39], 0, v[44:45]
	v_lshl_add_u64 v[44:45], v[40:41], 0, v[44:45]
	global_load_ushort v35, v[46:47], off
	global_load_ushort v37, v[44:45], off
	s_or_b64 s[56:57], vcc, s[56:57]
	s_waitcnt vmcnt(1)
	ds_write_b16 v19, v35
	s_waitcnt vmcnt(0)
	ds_write_b16 v20, v37
	v_add_u32_e32 v19, 0x80, v19
	v_add_u32_e32 v20, 2, v20
	s_andn2_b64 exec, exec, s[56:57]
	s_cbranch_execnz .LBB0_36
.LBB0_37:                               ;   in Loop: Header=BB0_15 Depth=1
	s_or_b64 exec, exec, s[0:1]
	v_mov_b32_e32 v46, 0
	v_mov_b32_e32 v18, 0
	;; [unrolled: 1-line block ×3, first 2 shown]
	s_waitcnt lgkmcnt(0)
	s_barrier
	s_and_saveexec_b64 s[0:1], s[26:27]
	s_cbranch_execz .LBB0_41
; %bb.38:                               ;   in Loop: Header=BB0_15 Depth=1
	ds_read_u16 v19, v61 offset:4
	ds_read_b32 v18, v61
	s_waitcnt lgkmcnt(1)
	v_and_b32_e32 v19, 0xffff, v19
	s_and_saveexec_b64 s[56:57], s[8:9]
	s_cbranch_execz .LBB0_40
; %bb.39:                               ;   in Loop: Header=BB0_15 Depth=1
	ds_read_u16 v20, v62
	s_waitcnt lgkmcnt(0)
	v_perm_b32 v19, v20, v19, s65
.LBB0_40:                               ;   in Loop: Header=BB0_15 Depth=1
	s_or_b64 exec, exec, s[56:57]
.LBB0_41:                               ;   in Loop: Header=BB0_15 Depth=1
	s_or_b64 exec, exec, s[0:1]
	s_waitcnt lgkmcnt(0)
	v_mfma_f32_16x16x16_bf16 v[18:21], v[28:29], v[18:19], 0
	v_mov_b32_e32 v47, 0
	s_and_saveexec_b64 s[0:1], s[26:27]
	s_cbranch_execz .LBB0_45
; %bb.42:                               ;   in Loop: Header=BB0_15 Depth=1
	ds_read_u16 v35, v61 offset:36
	ds_read_b32 v46, v61 offset:32
	s_waitcnt lgkmcnt(1)
	v_and_b32_e32 v47, 0xffff, v35
	s_and_saveexec_b64 s[56:57], s[8:9]
	s_cbranch_execz .LBB0_44
; %bb.43:                               ;   in Loop: Header=BB0_15 Depth=1
	ds_read_u16 v35, v63
	s_waitcnt lgkmcnt(0)
	v_perm_b32 v47, v35, v47, s65
.LBB0_44:                               ;   in Loop: Header=BB0_15 Depth=1
	s_or_b64 exec, exec, s[56:57]
.LBB0_45:                               ;   in Loop: Header=BB0_15 Depth=1
	s_or_b64 exec, exec, s[0:1]
	s_waitcnt lgkmcnt(0)
	v_mfma_f32_16x16x16_bf16 v[18:21], v[26:27], v[46:47], v[18:21]
	v_mov_b32_e32 v44, 0
	v_mov_b32_e32 v48, 0
	;; [unrolled: 1-line block ×3, first 2 shown]
	s_and_saveexec_b64 s[0:1], s[26:27]
	s_cbranch_execz .LBB0_49
; %bb.46:                               ;   in Loop: Header=BB0_15 Depth=1
	ds_read_u16 v35, v61 offset:68
	ds_read_b32 v48, v61 offset:64
	s_waitcnt lgkmcnt(1)
	v_and_b32_e32 v49, 0xffff, v35
	s_and_saveexec_b64 s[56:57], s[8:9]
	s_cbranch_execz .LBB0_48
; %bb.47:                               ;   in Loop: Header=BB0_15 Depth=1
	ds_read_u16 v35, v64
	s_waitcnt lgkmcnt(0)
	v_perm_b32 v49, v35, v49, s65
.LBB0_48:                               ;   in Loop: Header=BB0_15 Depth=1
	s_or_b64 exec, exec, s[56:57]
.LBB0_49:                               ;   in Loop: Header=BB0_15 Depth=1
	s_or_b64 exec, exec, s[0:1]
	s_waitcnt lgkmcnt(0)
	v_mfma_f32_16x16x16_bf16 v[18:21], v[32:33], v[48:49], v[18:21]
	v_mov_b32_e32 v45, 0
	s_and_saveexec_b64 s[0:1], s[26:27]
	s_cbranch_execz .LBB0_53
; %bb.50:                               ;   in Loop: Header=BB0_15 Depth=1
	ds_read_u16 v35, v61 offset:100
	ds_read_b32 v44, v61 offset:96
	s_waitcnt lgkmcnt(1)
	v_and_b32_e32 v45, 0xffff, v35
	s_and_saveexec_b64 s[56:57], s[8:9]
	s_cbranch_execz .LBB0_52
; %bb.51:                               ;   in Loop: Header=BB0_15 Depth=1
	ds_read_u16 v35, v65
	s_waitcnt lgkmcnt(0)
	v_perm_b32 v45, v35, v45, s65
.LBB0_52:                               ;   in Loop: Header=BB0_15 Depth=1
	s_or_b64 exec, exec, s[56:57]
.LBB0_53:                               ;   in Loop: Header=BB0_15 Depth=1
	s_or_b64 exec, exec, s[0:1]
	s_waitcnt lgkmcnt(0)
	v_mfma_f32_16x16x16_bf16 v[18:21], v[30:31], v[44:45], v[18:21]
	v_mov_b32_e32 v46, 0
	s_and_saveexec_b64 s[0:1], s[26:27]
	s_cbranch_execz .LBB0_55
; %bb.54:                               ;   in Loop: Header=BB0_15 Depth=1
	v_mov_b32_e32 v43, v36
	v_lshl_add_u64 v[42:43], v[42:43], 2, s[52:53]
	global_load_dword v46, v[42:43], off
.LBB0_55:                               ;   in Loop: Header=BB0_15 Depth=1
	s_or_b64 exec, exec, s[0:1]
	s_mov_b64 s[0:1], s[2:3]
                                        ; implicit-def: $vgpr37
	s_and_saveexec_b64 s[56:57], s[26:27]
	s_cbranch_execz .LBB0_59
; %bb.56:                               ;   in Loop: Header=BB0_15 Depth=1
	s_andn2_b64 s[0:1], s[2:3], exec
	s_and_b64 s[72:73], s[10:11], exec
	s_waitcnt vmcnt(0)
	v_add_f32_e32 v37, v46, v18
	s_or_b64 s[0:1], s[0:1], s[72:73]
	s_or_b64 exec, exec, s[56:57]
	s_and_saveexec_b64 s[56:57], s[0:1]
	s_branch .LBB0_60
.LBB0_57:                               ;   in Loop: Header=BB0_15 Depth=1
	s_andn2_saveexec_b64 s[0:1], s[0:1]
	s_cbranch_execz .LBB0_24
.LBB0_58:                               ;   in Loop: Header=BB0_15 Depth=1
	s_andn2_b64 s[56:57], s[56:57], exec
	s_and_b64 s[72:73], s[30:31], exec
	v_mov_b32_e32 v18, 0
	s_or_b64 s[56:57], s[56:57], s[72:73]
	s_or_b64 exec, exec, s[0:1]
	s_and_saveexec_b64 s[0:1], s[56:57]
	s_cbranch_execnz .LBB0_25
	s_branch .LBB0_26
.LBB0_59:                               ;   in Loop: Header=BB0_15 Depth=1
	s_or_b64 exec, exec, s[56:57]
	s_and_saveexec_b64 s[56:57], s[0:1]
.LBB0_60:                               ;   in Loop: Header=BB0_15 Depth=1
	v_mov_b32_e32 v37, 0xff800000
; %bb.61:                               ;   in Loop: Header=BB0_15 Depth=1
	s_or_b64 exec, exec, s[56:57]
	s_mov_b64 s[0:1], s[2:3]
                                        ; implicit-def: $vgpr42
	s_and_saveexec_b64 s[56:57], s[26:27]
	s_cbranch_execz .LBB0_63
; %bb.62:                               ;   in Loop: Header=BB0_15 Depth=1
	s_andn2_b64 s[0:1], s[2:3], exec
	s_and_b64 s[72:73], s[14:15], exec
	s_waitcnt vmcnt(0)
	v_add_f32_e32 v42, v46, v19
	s_or_b64 s[0:1], s[0:1], s[72:73]
	s_or_b64 exec, exec, s[56:57]
	s_and_saveexec_b64 s[56:57], s[0:1]
	s_branch .LBB0_64
.LBB0_63:                               ;   in Loop: Header=BB0_15 Depth=1
	s_or_b64 exec, exec, s[56:57]
	s_and_saveexec_b64 s[56:57], s[0:1]
.LBB0_64:                               ;   in Loop: Header=BB0_15 Depth=1
	v_mov_b32_e32 v42, 0xff800000
; %bb.65:                               ;   in Loop: Header=BB0_15 Depth=1
	s_or_b64 exec, exec, s[56:57]
	s_mov_b64 s[0:1], s[2:3]
                                        ; implicit-def: $vgpr43
	s_and_saveexec_b64 s[56:57], s[26:27]
	s_cbranch_execz .LBB0_67
; %bb.66:                               ;   in Loop: Header=BB0_15 Depth=1
	s_andn2_b64 s[0:1], s[2:3], exec
	s_and_b64 s[72:73], s[18:19], exec
	s_waitcnt vmcnt(0)
	v_add_f32_e32 v43, v46, v20
	s_or_b64 s[0:1], s[0:1], s[72:73]
	s_or_b64 exec, exec, s[56:57]
	s_and_saveexec_b64 s[56:57], s[0:1]
	s_branch .LBB0_68
.LBB0_67:                               ;   in Loop: Header=BB0_15 Depth=1
	s_or_b64 exec, exec, s[56:57]
	s_and_saveexec_b64 s[56:57], s[0:1]
.LBB0_68:                               ;   in Loop: Header=BB0_15 Depth=1
	v_mov_b32_e32 v43, 0xff800000
; %bb.69:                               ;   in Loop: Header=BB0_15 Depth=1
	s_or_b64 exec, exec, s[56:57]
	s_mov_b64 s[0:1], s[2:3]
                                        ; implicit-def: $vgpr35
	s_and_saveexec_b64 s[56:57], s[26:27]
	s_cbranch_execz .LBB0_71
; %bb.70:                               ;   in Loop: Header=BB0_15 Depth=1
	s_andn2_b64 s[0:1], s[2:3], exec
	s_and_b64 s[72:73], s[22:23], exec
	s_waitcnt vmcnt(0)
	v_add_f32_e32 v35, v46, v21
	s_or_b64 s[0:1], s[0:1], s[72:73]
	s_or_b64 exec, exec, s[56:57]
	s_and_saveexec_b64 s[56:57], s[0:1]
	s_cbranch_execnz .LBB0_72
	s_branch .LBB0_73
.LBB0_71:                               ;   in Loop: Header=BB0_15 Depth=1
	s_or_b64 exec, exec, s[56:57]
	s_and_saveexec_b64 s[56:57], s[0:1]
.LBB0_72:                               ;   in Loop: Header=BB0_15 Depth=1
	v_mov_b32_e32 v35, 0xff800000
.LBB0_73:                               ;   in Loop: Header=BB0_15 Depth=1
	s_or_b64 exec, exec, s[56:57]
	ds_bpermute_b32 v18, v66, v37
	v_max_f32_e32 v19, v37, v37
	ds_bpermute_b32 v20, v66, v42
	v_max_f32_e32 v21, v42, v42
	ds_bpermute_b32 v44, v66, v43
	s_waitcnt lgkmcnt(2)
	v_max_f32_e32 v18, v18, v18
	v_max_f32_e32 v18, v19, v18
	ds_bpermute_b32 v19, v67, v18
	s_waitcnt lgkmcnt(2)
	v_max_f32_e32 v20, v20, v20
	v_max_f32_e32 v20, v21, v20
	ds_bpermute_b32 v21, v67, v20
	s_waitcnt vmcnt(0)
	ds_bpermute_b32 v46, v66, v35
	s_waitcnt lgkmcnt(2)
	v_max_f32_e32 v19, v19, v19
	v_max_f32_e32 v18, v18, v19
	ds_bpermute_b32 v19, v68, v18
	s_waitcnt lgkmcnt(2)
	v_max_f32_e32 v21, v21, v21
	v_max_f32_e32 v20, v20, v21
	ds_bpermute_b32 v21, v68, v20
	v_max_f32_e32 v45, v43, v43
	s_waitcnt lgkmcnt(1)
	v_max_f32_e32 v19, v19, v19
	v_max_f32_e32 v18, v18, v19
	ds_bpermute_b32 v19, v69, v18
	v_max_f32_e32 v44, v44, v44
	s_waitcnt lgkmcnt(1)
	v_max_f32_e32 v21, v21, v21
	v_max_f32_e32 v21, v20, v21
	ds_bpermute_b32 v47, v69, v21
	s_waitcnt lgkmcnt(1)
	v_max_f32_e32 v19, v19, v19
	v_max_f32_e32 v18, v18, v19
	ds_bpermute_b32 v20, v55, v18
	v_max_f32_e32 v18, v45, v44
	ds_bpermute_b32 v19, v67, v18
	v_max_f32_e32 v44, v46, v46
	v_max_f32_e32 v45, v35, v35
	;; [unrolled: 1-line block ×3, first 2 shown]
	ds_bpermute_b32 v45, v67, v44
	s_waitcnt lgkmcnt(1)
	v_max_f32_e32 v19, v19, v19
	v_max_f32_e32 v18, v18, v19
	ds_bpermute_b32 v19, v68, v18
	v_max_f32_e32 v46, v47, v47
	s_waitcnt lgkmcnt(1)
	v_max_f32_e32 v45, v45, v45
	v_max_f32_e32 v44, v44, v45
	ds_bpermute_b32 v45, v68, v44
	s_waitcnt lgkmcnt(1)
	v_max_f32_e32 v19, v19, v19
	v_max_f32_e32 v18, v18, v19
	ds_bpermute_b32 v19, v69, v18
	v_max_f32_e32 v21, v21, v46
	s_waitcnt lgkmcnt(1)
	v_max_f32_e32 v45, v45, v45
	v_max_f32_e32 v44, v44, v45
	ds_bpermute_b32 v45, v69, v44
	s_waitcnt lgkmcnt(1)
	v_max_f32_e32 v19, v19, v19
	v_max_f32_e32 v18, v18, v19
	ds_bpermute_b32 v19, v55, v18
	ds_bpermute_b32 v21, v55, v21
	s_waitcnt lgkmcnt(2)
	v_max_f32_e32 v18, v45, v45
	v_max_f32_e32 v18, v44, v18
	ds_bpermute_b32 v18, v55, v18
	s_and_saveexec_b64 s[0:1], s[6:7]
	s_cbranch_execz .LBB0_78
; %bb.74:                               ;   in Loop: Header=BB0_15 Depth=1
	ds_read_b32 v44, v83
	v_max_f32_e32 v20, v20, v20
	s_waitcnt lgkmcnt(0)
	ds_write_b32 v82, v44
	v_max_f32_e32 v44, v44, v44
	v_max_f32_e32 v20, v44, v20
	ds_write_b32 v83, v20
	s_and_saveexec_b64 s[56:57], s[24:25]
	s_cbranch_execz .LBB0_99
; %bb.75:                               ;   in Loop: Header=BB0_15 Depth=1
	ds_read_b32 v20, v71 offset:4
	v_max_f32_e32 v21, v21, v21
	s_waitcnt lgkmcnt(0)
	ds_write_b32 v70, v20 offset:4
	v_max_f32_e32 v20, v20, v20
	v_max_f32_e32 v20, v20, v21
	ds_write_b32 v71, v20 offset:4
	s_or_b64 exec, exec, s[56:57]
	s_and_saveexec_b64 s[56:57], s[24:25]
	s_cbranch_execnz .LBB0_100
.LBB0_76:                               ;   in Loop: Header=BB0_15 Depth=1
	s_or_b64 exec, exec, s[56:57]
	s_and_b64 exec, exec, s[24:25]
	s_cbranch_execz .LBB0_78
.LBB0_77:                               ;   in Loop: Header=BB0_15 Depth=1
	ds_read_b32 v19, v71 offset:12
	v_max_f32_e32 v18, v18, v18
	s_waitcnt lgkmcnt(0)
	ds_write_b32 v70, v19 offset:12
	v_max_f32_e32 v19, v19, v19
	v_max_f32_e32 v18, v19, v18
	ds_write_b32 v71, v18 offset:12
.LBB0_78:                               ;   in Loop: Header=BB0_15 Depth=1
	s_or_b64 exec, exec, s[0:1]
	s_waitcnt lgkmcnt(0)
	v_mov_b32_e32 v18, 0
	v_mov_b32_e32 v19, 0
	s_barrier
	s_and_saveexec_b64 s[0:1], s[26:27]
	s_cbranch_execz .LBB0_80
; %bb.79:                               ;   in Loop: Header=BB0_15 Depth=1
	ds_read_b32 v19, v83
	s_waitcnt lgkmcnt(0)
	v_sub_f32_e32 v20, v37, v19
	v_mul_f32_e32 v20, 0x3fb8aa3b, v20
	v_exp_f32_e32 v20, v20
	v_cmp_lg_f32_e32 vcc, s66, v19
	s_and_b64 vcc, s[4:5], vcc
	s_nop 0
	v_cndmask_b32_e32 v19, 0, v20, vcc
.LBB0_80:                               ;   in Loop: Header=BB0_15 Depth=1
	s_or_b64 exec, exec, s[0:1]
	ds_bpermute_b32 v20, v66, v19
	s_waitcnt lgkmcnt(0)
	v_add_f32_e32 v20, v19, v20
	ds_bpermute_b32 v21, v67, v20
	s_waitcnt lgkmcnt(0)
	v_add_f32_e32 v20, v20, v21
	;; [unrolled: 3-line block ×4, first 2 shown]
	ds_bpermute_b32 v44, v55, v20
	s_and_saveexec_b64 s[0:1], s[26:27]
	s_cbranch_execz .LBB0_82
; %bb.81:                               ;   in Loop: Header=BB0_15 Depth=1
	ds_read_b32 v18, v83 offset:4
	s_waitcnt lgkmcnt(0)
	v_sub_f32_e32 v20, v42, v18
	v_mul_f32_e32 v20, 0x3fb8aa3b, v20
	v_exp_f32_e32 v20, v20
	v_cmp_lg_f32_e32 vcc, s66, v18
	s_and_b64 vcc, s[12:13], vcc
	s_nop 0
	v_cndmask_b32_e32 v18, 0, v20, vcc
.LBB0_82:                               ;   in Loop: Header=BB0_15 Depth=1
	s_or_b64 exec, exec, s[0:1]
	ds_bpermute_b32 v20, v66, v18
	s_waitcnt lgkmcnt(0)
	v_add_f32_e32 v20, v18, v20
	ds_bpermute_b32 v21, v67, v20
	s_waitcnt lgkmcnt(0)
	v_add_f32_e32 v20, v20, v21
	;; [unrolled: 3-line block ×4, first 2 shown]
	ds_bpermute_b32 v42, v55, v20
	v_mov_b32_e32 v20, 0
	s_and_saveexec_b64 s[0:1], s[26:27]
	s_cbranch_execz .LBB0_84
; %bb.83:                               ;   in Loop: Header=BB0_15 Depth=1
	ds_read_b32 v20, v83 offset:8
	s_waitcnt lgkmcnt(0)
	v_sub_f32_e32 v21, v43, v20
	v_mul_f32_e32 v21, 0x3fb8aa3b, v21
	v_exp_f32_e32 v21, v21
	v_cmp_lg_f32_e32 vcc, s66, v20
	s_and_b64 vcc, s[16:17], vcc
	s_nop 0
	v_cndmask_b32_e32 v20, 0, v21, vcc
.LBB0_84:                               ;   in Loop: Header=BB0_15 Depth=1
	s_or_b64 exec, exec, s[0:1]
	ds_bpermute_b32 v21, v66, v20
	v_mov_b32_e32 v43, 0xff800000
	s_waitcnt lgkmcnt(0)
	v_add_f32_e32 v21, v20, v21
	ds_bpermute_b32 v37, v67, v21
	s_waitcnt lgkmcnt(0)
	v_add_f32_e32 v21, v21, v37
	ds_bpermute_b32 v37, v68, v21
	;; [unrolled: 3-line block ×4, first 2 shown]
	s_and_saveexec_b64 s[0:1], s[24:25]
; %bb.85:                               ;   in Loop: Header=BB0_15 Depth=1
	ds_read_b32 v43, v72
; %bb.86:                               ;   in Loop: Header=BB0_15 Depth=1
	s_or_b64 exec, exec, s[0:1]
	v_mov_b32_e32 v21, 0
	s_and_saveexec_b64 s[0:1], s[26:27]
	s_cbranch_execz .LBB0_88
; %bb.87:                               ;   in Loop: Header=BB0_15 Depth=1
	s_waitcnt lgkmcnt(0)
	v_sub_f32_e32 v21, v35, v43
	v_mul_f32_e32 v21, 0x3fb8aa3b, v21
	v_exp_f32_e32 v21, v21
	v_cmp_lg_f32_e32 vcc, s66, v43
	s_and_b64 vcc, s[20:21], vcc
	s_nop 0
	v_cndmask_b32_e32 v21, 0, v21, vcc
.LBB0_88:                               ;   in Loop: Header=BB0_15 Depth=1
	s_or_b64 exec, exec, s[0:1]
	ds_bpermute_b32 v35, v66, v21
	s_waitcnt lgkmcnt(0)
	v_add_f32_e32 v35, v21, v35
	ds_bpermute_b32 v43, v67, v35
	s_waitcnt lgkmcnt(0)
	v_add_f32_e32 v35, v35, v43
	;; [unrolled: 3-line block ×4, first 2 shown]
	ds_bpermute_b32 v35, v55, v35
	s_and_saveexec_b64 s[26:27], s[6:7]
	s_cbranch_execz .LBB0_117
; %bb.89:                               ;   in Loop: Header=BB0_15 Depth=1
	s_and_saveexec_b64 s[0:1], s[10:11]
	s_xor_b64 s[0:1], exec, s[0:1]
	s_cbranch_execz .LBB0_101
; %bb.90:                               ;   in Loop: Header=BB0_15 Depth=1
	ds_write_b32 v85, v36
	ds_write_b32 v84, v36
                                        ; implicit-def: $vgpr44
	s_andn2_saveexec_b64 s[56:57], s[0:1]
	s_cbranch_execnz .LBB0_102
.LBB0_91:                               ;   in Loop: Header=BB0_15 Depth=1
	s_or_b64 exec, exec, s[56:57]
	s_and_saveexec_b64 s[0:1], s[14:15]
	s_xor_b64 s[0:1], exec, s[0:1]
	s_cbranch_execz .LBB0_105
.LBB0_92:                               ;   in Loop: Header=BB0_15 Depth=1
	ds_write_b32 v85, v36 offset:4
	ds_write_b32 v84, v36 offset:4
                                        ; implicit-def: $vgpr42
	s_andn2_saveexec_b64 s[56:57], s[0:1]
	s_cbranch_execnz .LBB0_106
.LBB0_93:                               ;   in Loop: Header=BB0_15 Depth=1
	s_or_b64 exec, exec, s[56:57]
	s_and_saveexec_b64 s[0:1], s[18:19]
	s_xor_b64 s[0:1], exec, s[0:1]
	s_cbranch_execz .LBB0_109
.LBB0_94:                               ;   in Loop: Header=BB0_15 Depth=1
	ds_write_b32 v85, v36 offset:8
	ds_write_b32 v84, v36 offset:8
                                        ; implicit-def: $vgpr37
	s_andn2_saveexec_b64 s[56:57], s[0:1]
	s_cbranch_execnz .LBB0_110
.LBB0_95:                               ;   in Loop: Header=BB0_15 Depth=1
	s_or_b64 exec, exec, s[56:57]
	s_and_saveexec_b64 s[0:1], s[22:23]
	s_xor_b64 s[0:1], exec, s[0:1]
	s_cbranch_execz .LBB0_113
.LBB0_96:                               ;   in Loop: Header=BB0_15 Depth=1
	s_and_saveexec_b64 s[56:57], s[24:25]
	s_cbranch_execz .LBB0_98
; %bb.97:                               ;   in Loop: Header=BB0_15 Depth=1
	ds_write_b32 v74, v36
	ds_write_b32 v73, v36
.LBB0_98:                               ;   in Loop: Header=BB0_15 Depth=1
	s_or_b64 exec, exec, s[56:57]
                                        ; implicit-def: $vgpr35
	s_andn2_saveexec_b64 s[0:1], s[0:1]
	s_cbranch_execz .LBB0_117
	s_branch .LBB0_114
.LBB0_99:                               ;   in Loop: Header=BB0_15 Depth=1
	s_or_b64 exec, exec, s[56:57]
	s_and_saveexec_b64 s[56:57], s[24:25]
	s_cbranch_execz .LBB0_76
.LBB0_100:                              ;   in Loop: Header=BB0_15 Depth=1
	ds_read_b32 v20, v71 offset:8
	v_max_f32_e32 v19, v19, v19
	s_waitcnt lgkmcnt(0)
	ds_write_b32 v70, v20 offset:8
	v_max_f32_e32 v20, v20, v20
	v_max_f32_e32 v19, v20, v19
	ds_write_b32 v71, v19 offset:8
	s_or_b64 exec, exec, s[56:57]
	s_and_b64 exec, exec, s[24:25]
	s_cbranch_execnz .LBB0_77
	s_branch .LBB0_78
.LBB0_101:                              ;   in Loop: Header=BB0_15 Depth=1
	s_andn2_saveexec_b64 s[56:57], s[0:1]
	s_cbranch_execz .LBB0_91
.LBB0_102:                              ;   in Loop: Header=BB0_15 Depth=1
	ds_read_b32 v46, v82
	ds_read_b32 v43, v86
	v_mov_b32_e32 v45, 0
	s_waitcnt lgkmcnt(1)
	v_cmp_neq_f32_e32 vcc, s66, v46
	s_and_saveexec_b64 s[0:1], vcc
	s_cbranch_execz .LBB0_104
; %bb.103:                              ;   in Loop: Header=BB0_15 Depth=1
	ds_read_b32 v45, v83
	s_waitcnt lgkmcnt(0)
	v_sub_f32_e32 v45, v46, v45
	v_mul_f32_e32 v45, 0x3fb8aa3b, v45
	v_exp_f32_e32 v45, v45
.LBB0_104:                              ;   in Loop: Header=BB0_15 Depth=1
	s_or_b64 exec, exec, s[0:1]
	s_waitcnt lgkmcnt(0)
	v_mul_f32_e32 v46, v43, v45
	v_fmac_f32_e32 v44, v43, v45
	v_div_scale_f32 v43, s[0:1], v44, v44, v46
	v_rcp_f32_e32 v45, v43
	s_nop 0
	v_fma_f32 v47, -v43, v45, 1.0
	v_fmac_f32_e32 v45, v47, v45
	v_div_scale_f32 v47, vcc, v46, v44, v46
	v_mul_f32_e32 v48, v47, v45
	v_fma_f32 v49, -v43, v48, v47
	v_fmac_f32_e32 v48, v49, v45
	v_fma_f32 v43, -v43, v48, v47
	v_div_fmas_f32 v43, v43, v45, v48
	v_div_scale_f32 v45, s[0:1], v44, v44, 1.0
	v_rcp_f32_e32 v47, v45
	v_div_fixup_f32 v43, v43, v44, v46
	v_cmp_lt_f32_e64 s[0:1], 0, v44
	v_fma_f32 v46, -v45, v47, 1.0
	v_fmac_f32_e32 v47, v46, v47
	v_div_scale_f32 v46, vcc, 1.0, v44, 1.0
	v_mul_f32_e32 v48, v46, v47
	v_fma_f32 v49, -v45, v48, v46
	v_fmac_f32_e32 v48, v49, v47
	v_fma_f32 v45, -v45, v48, v46
	v_div_fmas_f32 v45, v45, v47, v48
	v_cndmask_b32_e64 v43, 0, v43, s[0:1]
	v_div_fixup_f32 v45, v45, v44, 1.0
	v_cndmask_b32_e64 v45, 0, v45, s[0:1]
	ds_write_b32 v85, v43
	ds_write_b32 v84, v45
	;; [unrolled: 1-line block ×3, first 2 shown]
	s_or_b64 exec, exec, s[56:57]
	s_and_saveexec_b64 s[0:1], s[14:15]
	s_xor_b64 s[0:1], exec, s[0:1]
	s_cbranch_execnz .LBB0_92
.LBB0_105:                              ;   in Loop: Header=BB0_15 Depth=1
	s_andn2_saveexec_b64 s[56:57], s[0:1]
	s_cbranch_execz .LBB0_93
.LBB0_106:                              ;   in Loop: Header=BB0_15 Depth=1
	ds_read_b32 v45, v82 offset:4
	ds_read_b32 v43, v86 offset:4
	v_mov_b32_e32 v44, 0
	s_waitcnt lgkmcnt(1)
	v_cmp_neq_f32_e32 vcc, s66, v45
	s_and_saveexec_b64 s[0:1], vcc
	s_cbranch_execz .LBB0_108
; %bb.107:                              ;   in Loop: Header=BB0_15 Depth=1
	ds_read_b32 v44, v83 offset:4
	s_waitcnt lgkmcnt(0)
	v_sub_f32_e32 v44, v45, v44
	v_mul_f32_e32 v44, 0x3fb8aa3b, v44
	v_exp_f32_e32 v44, v44
.LBB0_108:                              ;   in Loop: Header=BB0_15 Depth=1
	s_or_b64 exec, exec, s[0:1]
	s_waitcnt lgkmcnt(0)
	v_mul_f32_e32 v45, v43, v44
	v_fmac_f32_e32 v42, v43, v44
	v_div_scale_f32 v43, s[0:1], v42, v42, v45
	v_rcp_f32_e32 v44, v43
	s_nop 0
	v_fma_f32 v46, -v43, v44, 1.0
	v_fmac_f32_e32 v44, v46, v44
	v_div_scale_f32 v46, vcc, v45, v42, v45
	v_mul_f32_e32 v47, v46, v44
	v_fma_f32 v48, -v43, v47, v46
	v_fmac_f32_e32 v47, v48, v44
	v_fma_f32 v43, -v43, v47, v46
	v_div_fmas_f32 v43, v43, v44, v47
	v_div_scale_f32 v44, s[0:1], v42, v42, 1.0
	v_rcp_f32_e32 v46, v44
	v_div_fixup_f32 v43, v43, v42, v45
	v_cmp_lt_f32_e64 s[0:1], 0, v42
	v_fma_f32 v45, -v44, v46, 1.0
	v_fmac_f32_e32 v46, v45, v46
	v_div_scale_f32 v45, vcc, 1.0, v42, 1.0
	v_mul_f32_e32 v47, v45, v46
	v_fma_f32 v48, -v44, v47, v45
	v_fmac_f32_e32 v47, v48, v46
	v_fma_f32 v44, -v44, v47, v45
	v_div_fmas_f32 v44, v44, v46, v47
	v_cndmask_b32_e64 v43, 0, v43, s[0:1]
	v_div_fixup_f32 v44, v44, v42, 1.0
	v_cndmask_b32_e64 v44, 0, v44, s[0:1]
	ds_write_b32 v85, v43 offset:4
	ds_write_b32 v84, v44 offset:4
	;; [unrolled: 1-line block ×3, first 2 shown]
	s_or_b64 exec, exec, s[56:57]
	s_and_saveexec_b64 s[0:1], s[18:19]
	s_xor_b64 s[0:1], exec, s[0:1]
	s_cbranch_execnz .LBB0_94
.LBB0_109:                              ;   in Loop: Header=BB0_15 Depth=1
	s_andn2_saveexec_b64 s[56:57], s[0:1]
	s_cbranch_execz .LBB0_95
.LBB0_110:                              ;   in Loop: Header=BB0_15 Depth=1
	ds_read_b32 v44, v82 offset:8
	ds_read_b32 v42, v86 offset:8
	v_mov_b32_e32 v43, 0
	s_waitcnt lgkmcnt(1)
	v_cmp_neq_f32_e32 vcc, s66, v44
	s_and_saveexec_b64 s[0:1], vcc
	s_cbranch_execz .LBB0_112
; %bb.111:                              ;   in Loop: Header=BB0_15 Depth=1
	ds_read_b32 v43, v83 offset:8
	s_waitcnt lgkmcnt(0)
	v_sub_f32_e32 v43, v44, v43
	v_mul_f32_e32 v43, 0x3fb8aa3b, v43
	v_exp_f32_e32 v43, v43
.LBB0_112:                              ;   in Loop: Header=BB0_15 Depth=1
	s_or_b64 exec, exec, s[0:1]
	s_waitcnt lgkmcnt(0)
	v_mul_f32_e32 v44, v42, v43
	v_fmac_f32_e32 v37, v42, v43
	v_div_scale_f32 v42, s[0:1], v37, v37, v44
	v_rcp_f32_e32 v43, v42
	s_nop 0
	v_fma_f32 v45, -v42, v43, 1.0
	v_fmac_f32_e32 v43, v45, v43
	v_div_scale_f32 v45, vcc, v44, v37, v44
	v_mul_f32_e32 v46, v45, v43
	v_fma_f32 v47, -v42, v46, v45
	v_fmac_f32_e32 v46, v47, v43
	v_fma_f32 v42, -v42, v46, v45
	v_div_fmas_f32 v42, v42, v43, v46
	v_div_scale_f32 v43, s[0:1], v37, v37, 1.0
	v_rcp_f32_e32 v45, v43
	v_div_fixup_f32 v42, v42, v37, v44
	v_cmp_lt_f32_e64 s[0:1], 0, v37
	v_fma_f32 v44, -v43, v45, 1.0
	v_fmac_f32_e32 v45, v44, v45
	v_div_scale_f32 v44, vcc, 1.0, v37, 1.0
	v_mul_f32_e32 v46, v44, v45
	v_fma_f32 v47, -v43, v46, v44
	v_fmac_f32_e32 v46, v47, v45
	v_fma_f32 v43, -v43, v46, v44
	v_div_fmas_f32 v43, v43, v45, v46
	v_cndmask_b32_e64 v42, 0, v42, s[0:1]
	v_div_fixup_f32 v43, v43, v37, 1.0
	v_cndmask_b32_e64 v43, 0, v43, s[0:1]
	ds_write_b32 v85, v42 offset:8
	ds_write_b32 v84, v43 offset:8
	;; [unrolled: 1-line block ×3, first 2 shown]
	s_or_b64 exec, exec, s[56:57]
	s_and_saveexec_b64 s[0:1], s[22:23]
	s_xor_b64 s[0:1], exec, s[0:1]
	s_cbranch_execnz .LBB0_96
.LBB0_113:                              ;   in Loop: Header=BB0_15 Depth=1
	s_andn2_saveexec_b64 s[0:1], s[0:1]
	s_cbranch_execz .LBB0_117
.LBB0_114:                              ;   in Loop: Header=BB0_15 Depth=1
	ds_read_b32 v43, v75
	ds_read_b32 v37, v76
	v_mov_b32_e32 v42, 0
	s_waitcnt lgkmcnt(1)
	v_cmp_neq_f32_e32 vcc, s66, v43
	s_and_saveexec_b64 s[0:1], vcc
	s_cbranch_execz .LBB0_116
; %bb.115:                              ;   in Loop: Header=BB0_15 Depth=1
	ds_read_b32 v42, v72
	s_waitcnt lgkmcnt(0)
	v_sub_f32_e32 v42, v43, v42
	v_mul_f32_e32 v42, 0x3fb8aa3b, v42
	v_exp_f32_e32 v42, v42
.LBB0_116:                              ;   in Loop: Header=BB0_15 Depth=1
	s_or_b64 exec, exec, s[0:1]
	s_waitcnt lgkmcnt(0)
	v_mul_f32_e32 v43, v37, v42
	v_fmac_f32_e32 v35, v37, v42
	v_div_scale_f32 v37, s[0:1], v35, v35, v43
	v_rcp_f32_e32 v42, v37
	s_nop 0
	v_fma_f32 v44, -v37, v42, 1.0
	v_fmac_f32_e32 v42, v44, v42
	v_div_scale_f32 v44, vcc, v43, v35, v43
	v_mul_f32_e32 v45, v44, v42
	v_fma_f32 v46, -v37, v45, v44
	v_fmac_f32_e32 v45, v46, v42
	v_fma_f32 v37, -v37, v45, v44
	v_div_fmas_f32 v37, v37, v42, v45
	v_div_scale_f32 v42, s[0:1], v35, v35, 1.0
	v_rcp_f32_e32 v44, v42
	v_div_fixup_f32 v37, v37, v35, v43
	v_cmp_lt_f32_e64 s[0:1], 0, v35
	v_fma_f32 v43, -v42, v44, 1.0
	v_fmac_f32_e32 v44, v43, v44
	v_div_scale_f32 v43, vcc, 1.0, v35, 1.0
	v_mul_f32_e32 v45, v43, v44
	v_fma_f32 v46, -v42, v45, v43
	v_fmac_f32_e32 v45, v46, v44
	v_fma_f32 v42, -v42, v45, v43
	v_div_fmas_f32 v42, v42, v44, v45
	v_cndmask_b32_e64 v37, 0, v37, s[0:1]
	v_div_fixup_f32 v42, v42, v35, 1.0
	v_cndmask_b32_e64 v42, 0, v42, s[0:1]
	ds_write_b32 v74, v37
	ds_write_b32 v73, v42
	;; [unrolled: 1-line block ×3, first 2 shown]
.LBB0_117:                              ;   in Loop: Header=BB0_15 Depth=1
	s_or_b64 exec, exec, s[26:27]
	s_waitcnt lgkmcnt(0)
	v_mov_b32_e32 v35, 0
	v_mov_b32_e32 v48, 0
	s_barrier
	s_and_saveexec_b64 s[0:1], s[4:5]
; %bb.118:                              ;   in Loop: Header=BB0_15 Depth=1
	ds_read_b32 v48, v85
; %bb.119:                              ;   in Loop: Header=BB0_15 Depth=1
	s_or_b64 exec, exec, s[0:1]
	s_nor_b64 s[26:27], s[2:3], s[10:11]
	s_and_saveexec_b64 s[0:1], s[26:27]
	s_cbranch_execz .LBB0_121
; %bb.120:                              ;   in Loop: Header=BB0_15 Depth=1
	ds_read_b32 v35, v84
	s_waitcnt lgkmcnt(0)
	v_mul_f32_e32 v19, v19, v35
	v_cvt_pk_bf16_f32 v35, v19, s0
.LBB0_121:                              ;   in Loop: Header=BB0_15 Depth=1
	s_or_b64 exec, exec, s[0:1]
	ds_write_b16 v77, v35
	v_mov_b32_e32 v19, 0
	v_mov_b32_e32 v35, 0
	s_and_saveexec_b64 s[0:1], s[12:13]
; %bb.122:                              ;   in Loop: Header=BB0_15 Depth=1
	ds_read_b32 v35, v85 offset:4
; %bb.123:                              ;   in Loop: Header=BB0_15 Depth=1
	s_or_b64 exec, exec, s[0:1]
	s_nor_b64 s[26:27], s[2:3], s[14:15]
	s_and_saveexec_b64 s[0:1], s[26:27]
	s_cbranch_execz .LBB0_125
; %bb.124:                              ;   in Loop: Header=BB0_15 Depth=1
	ds_read_b32 v19, v84 offset:4
	s_waitcnt lgkmcnt(0)
	v_mul_f32_e32 v18, v18, v19
	v_cvt_pk_bf16_f32 v19, v18, s0
.LBB0_125:                              ;   in Loop: Header=BB0_15 Depth=1
	s_or_b64 exec, exec, s[0:1]
	v_mov_b32_e32 v18, 0
	v_mov_b32_e32 v49, 0
	ds_write_b16 v77, v19 offset:32
	s_and_saveexec_b64 s[0:1], s[16:17]
; %bb.126:                              ;   in Loop: Header=BB0_15 Depth=1
	ds_read_b32 v49, v85 offset:8
; %bb.127:                              ;   in Loop: Header=BB0_15 Depth=1
	s_or_b64 exec, exec, s[0:1]
	s_nor_b64 s[26:27], s[2:3], s[18:19]
	s_and_saveexec_b64 s[0:1], s[26:27]
	s_cbranch_execz .LBB0_129
; %bb.128:                              ;   in Loop: Header=BB0_15 Depth=1
	ds_read_b32 v18, v84 offset:8
	s_waitcnt lgkmcnt(0)
	v_mul_f32_e32 v18, v20, v18
	v_cvt_pk_bf16_f32 v18, v18, s0
.LBB0_129:                              ;   in Loop: Header=BB0_15 Depth=1
	s_or_b64 exec, exec, s[0:1]
	ds_write_b16 v77, v18 offset:64
	v_mov_b32_e32 v18, 0
	v_mov_b32_e32 v87, 0
	s_and_saveexec_b64 s[0:1], s[20:21]
	s_cbranch_execz .LBB0_138
; %bb.130:                              ;   in Loop: Header=BB0_15 Depth=1
	ds_read_b32 v87, v74
	s_or_b64 exec, exec, s[0:1]
	s_nor_b64 s[2:3], s[2:3], s[22:23]
	s_and_saveexec_b64 s[0:1], s[2:3]
	s_cbranch_execnz .LBB0_139
.LBB0_131:                              ;   in Loop: Header=BB0_15 Depth=1
	s_or_b64 exec, exec, s[0:1]
	s_and_saveexec_b64 s[0:1], s[24:25]
.LBB0_132:                              ;   in Loop: Header=BB0_15 Depth=1
	ds_write_b16 v78, v18
.LBB0_133:                              ;   in Loop: Header=BB0_15 Depth=1
	s_or_b64 exec, exec, s[0:1]
	v_mov_b32_e32 v37, v36
	v_mov_b64_e32 v[18:19], v[36:37]
	s_waitcnt lgkmcnt(0)
	s_barrier
	s_and_saveexec_b64 s[0:1], s[28:29]
	s_cbranch_execz .LBB0_145
; %bb.134:                              ;   in Loop: Header=BB0_15 Depth=1
	v_mov_b32_e32 v37, v36
	v_cmp_gt_u32_e32 vcc, s70, v51
	v_mov_b64_e32 v[18:19], v[36:37]
	s_and_saveexec_b64 s[2:3], vcc
	s_cbranch_execz .LBB0_140
; %bb.135:                              ;   in Loop: Header=BB0_15 Depth=1
	ds_read_u16 v18, v79
	v_mov_b32_e32 v19, v36
	s_waitcnt lgkmcnt(0)
	v_and_b32_e32 v18, 0xffff, v18
	s_or_b64 exec, exec, s[2:3]
	v_cmp_gt_u32_e32 vcc, s71, v53
	s_and_saveexec_b64 s[2:3], vcc
	s_cbranch_execnz .LBB0_141
.LBB0_136:                              ;   in Loop: Header=BB0_15 Depth=1
	s_or_b64 exec, exec, s[2:3]
	v_cmp_gt_u32_e32 vcc, s71, v52
	s_and_saveexec_b64 s[2:3], vcc
	s_cbranch_execz .LBB0_142
.LBB0_137:                              ;   in Loop: Header=BB0_15 Depth=1
	ds_read_u16 v20, v79 offset:4
	s_waitcnt lgkmcnt(0)
	v_bfi_b32 v19, s67, v20, v19
	s_or_b64 exec, exec, s[2:3]
	v_cmp_gt_u32_e32 vcc, s71, v25
	s_and_saveexec_b64 s[2:3], vcc
	s_cbranch_execnz .LBB0_143
	s_branch .LBB0_144
.LBB0_138:                              ;   in Loop: Header=BB0_15 Depth=1
	s_or_b64 exec, exec, s[0:1]
	s_nor_b64 s[2:3], s[2:3], s[22:23]
	s_and_saveexec_b64 s[0:1], s[2:3]
	s_cbranch_execz .LBB0_131
.LBB0_139:                              ;   in Loop: Header=BB0_15 Depth=1
	ds_read_b32 v18, v73
	s_waitcnt lgkmcnt(0)
	v_mul_f32_e32 v18, v21, v18
	v_cvt_pk_bf16_f32 v18, v18, s0
	s_or_b64 exec, exec, s[0:1]
	s_and_saveexec_b64 s[0:1], s[24:25]
	s_cbranch_execnz .LBB0_132
	s_branch .LBB0_133
.LBB0_140:                              ;   in Loop: Header=BB0_15 Depth=1
	s_or_b64 exec, exec, s[2:3]
	v_cmp_gt_u32_e32 vcc, s71, v53
	s_and_saveexec_b64 s[2:3], vcc
	s_cbranch_execz .LBB0_136
.LBB0_141:                              ;   in Loop: Header=BB0_15 Depth=1
	ds_read_u16 v20, v79 offset:2
	s_waitcnt lgkmcnt(0)
	v_perm_b32 v18, v20, v18, s65
	s_or_b64 exec, exec, s[2:3]
	v_cmp_gt_u32_e32 vcc, s71, v52
	s_and_saveexec_b64 s[2:3], vcc
	s_cbranch_execnz .LBB0_137
.LBB0_142:                              ;   in Loop: Header=BB0_15 Depth=1
	s_or_b64 exec, exec, s[2:3]
	v_cmp_gt_u32_e32 vcc, s71, v25
	s_and_saveexec_b64 s[2:3], vcc
	s_cbranch_execz .LBB0_144
.LBB0_143:                              ;   in Loop: Header=BB0_15 Depth=1
	ds_read_u16 v20, v80
	s_waitcnt lgkmcnt(0)
	v_perm_b32 v19, v20, v19, s65
.LBB0_144:                              ;   in Loop: Header=BB0_15 Depth=1
	s_or_b64 exec, exec, s[2:3]
.LBB0_145:                              ;   in Loop: Header=BB0_15 Depth=1
	s_or_b64 exec, exec, s[0:1]
	v_mov_b32_e32 v37, v36
	v_cmp_gt_u32_e32 vcc, s70, v51
	v_mov_b64_e32 v[20:21], v[36:37]
	s_and_saveexec_b64 s[0:1], vcc
	s_cbranch_execz .LBB0_149
; %bb.146:                              ;   in Loop: Header=BB0_15 Depth=1
	ds_read_u16 v20, v56
	v_mov_b32_e32 v21, v36
	s_waitcnt lgkmcnt(0)
	v_and_b32_e32 v20, 0xffff, v20
	s_or_b64 exec, exec, s[0:1]
	v_cmp_gt_u32_e64 s[0:1], s71, v53
	s_and_saveexec_b64 s[2:3], s[0:1]
	s_cbranch_execnz .LBB0_150
.LBB0_147:                              ;   in Loop: Header=BB0_15 Depth=1
	s_or_b64 exec, exec, s[2:3]
	v_cmp_gt_u32_e64 s[2:3], s71, v52
	s_and_saveexec_b64 s[26:27], s[2:3]
	s_cbranch_execz .LBB0_151
.LBB0_148:                              ;   in Loop: Header=BB0_15 Depth=1
	ds_read_u16 v37, v56 offset:4
	s_waitcnt lgkmcnt(0)
	v_bfi_b32 v21, s67, v37, v21
	s_or_b64 exec, exec, s[26:27]
	v_cmp_gt_u32_e64 s[26:27], s71, v25
	s_and_saveexec_b64 s[56:57], s[26:27]
	s_cbranch_execnz .LBB0_152
	s_branch .LBB0_153
.LBB0_149:                              ;   in Loop: Header=BB0_15 Depth=1
	s_or_b64 exec, exec, s[0:1]
	v_cmp_gt_u32_e64 s[0:1], s71, v53
	s_and_saveexec_b64 s[2:3], s[0:1]
	s_cbranch_execz .LBB0_147
.LBB0_150:                              ;   in Loop: Header=BB0_15 Depth=1
	ds_read_u16 v37, v56 offset:2
	s_waitcnt lgkmcnt(0)
	v_perm_b32 v20, v37, v20, s65
	s_or_b64 exec, exec, s[2:3]
	v_cmp_gt_u32_e64 s[2:3], s71, v52
	s_and_saveexec_b64 s[26:27], s[2:3]
	s_cbranch_execnz .LBB0_148
.LBB0_151:                              ;   in Loop: Header=BB0_15 Depth=1
	s_or_b64 exec, exec, s[26:27]
	v_cmp_gt_u32_e64 s[26:27], s71, v25
	s_and_saveexec_b64 s[56:57], s[26:27]
	s_cbranch_execz .LBB0_153
.LBB0_152:                              ;   in Loop: Header=BB0_15 Depth=1
	ds_read_u16 v37, v57
	s_waitcnt lgkmcnt(0)
	v_perm_b32 v21, v37, v21, s65
.LBB0_153:                              ;   in Loop: Header=BB0_15 Depth=1
	s_or_b64 exec, exec, s[56:57]
	v_mov_b32_e32 v37, v36
	v_mov_b64_e32 v[42:43], v[36:37]
	s_and_saveexec_b64 s[56:57], vcc
	s_cbranch_execz .LBB0_157
; %bb.154:                              ;   in Loop: Header=BB0_15 Depth=1
	ds_read_u16 v37, v56 offset:512
	v_mov_b32_e32 v43, v36
	s_waitcnt lgkmcnt(0)
	v_and_b32_e32 v42, 0xffff, v37
	s_or_b64 exec, exec, s[56:57]
	s_and_saveexec_b64 s[56:57], s[0:1]
	s_cbranch_execnz .LBB0_158
.LBB0_155:                              ;   in Loop: Header=BB0_15 Depth=1
	s_or_b64 exec, exec, s[56:57]
	s_and_saveexec_b64 s[56:57], s[2:3]
	s_cbranch_execz .LBB0_159
.LBB0_156:                              ;   in Loop: Header=BB0_15 Depth=1
	ds_read_u16 v37, v56 offset:516
	s_waitcnt lgkmcnt(0)
	v_bfi_b32 v43, s67, v37, v43
	s_or_b64 exec, exec, s[56:57]
	s_and_saveexec_b64 s[56:57], s[26:27]
	s_cbranch_execnz .LBB0_160
	s_branch .LBB0_161
.LBB0_157:                              ;   in Loop: Header=BB0_15 Depth=1
	s_or_b64 exec, exec, s[56:57]
	s_and_saveexec_b64 s[56:57], s[0:1]
	s_cbranch_execz .LBB0_155
.LBB0_158:                              ;   in Loop: Header=BB0_15 Depth=1
	ds_read_u16 v37, v56 offset:514
	s_waitcnt lgkmcnt(0)
	v_perm_b32 v42, v37, v42, s65
	s_or_b64 exec, exec, s[56:57]
	s_and_saveexec_b64 s[56:57], s[2:3]
	s_cbranch_execnz .LBB0_156
.LBB0_159:                              ;   in Loop: Header=BB0_15 Depth=1
	s_or_b64 exec, exec, s[56:57]
	s_and_saveexec_b64 s[56:57], s[26:27]
	s_cbranch_execz .LBB0_161
.LBB0_160:                              ;   in Loop: Header=BB0_15 Depth=1
	ds_read_u16 v37, v57 offset:512
	s_waitcnt lgkmcnt(0)
	v_perm_b32 v43, v37, v43, s65
.LBB0_161:                              ;   in Loop: Header=BB0_15 Depth=1
	s_or_b64 exec, exec, s[56:57]
	v_mov_b32_e32 v37, v36
	v_mov_b64_e32 v[44:45], v[36:37]
	s_and_saveexec_b64 s[56:57], vcc
	s_cbranch_execz .LBB0_165
; %bb.162:                              ;   in Loop: Header=BB0_15 Depth=1
	ds_read_u16 v37, v56 offset:1024
	v_mov_b32_e32 v45, v36
	s_waitcnt lgkmcnt(0)
	v_and_b32_e32 v44, 0xffff, v37
	s_or_b64 exec, exec, s[56:57]
	s_and_saveexec_b64 s[56:57], s[0:1]
	s_cbranch_execnz .LBB0_166
.LBB0_163:                              ;   in Loop: Header=BB0_15 Depth=1
	s_or_b64 exec, exec, s[56:57]
	s_and_saveexec_b64 s[56:57], s[2:3]
	s_cbranch_execz .LBB0_167
.LBB0_164:                              ;   in Loop: Header=BB0_15 Depth=1
	ds_read_u16 v37, v56 offset:1028
	s_waitcnt lgkmcnt(0)
	v_bfi_b32 v45, s67, v37, v45
	s_or_b64 exec, exec, s[56:57]
	s_and_saveexec_b64 s[56:57], s[26:27]
	s_cbranch_execnz .LBB0_168
	s_branch .LBB0_169
.LBB0_165:                              ;   in Loop: Header=BB0_15 Depth=1
	s_or_b64 exec, exec, s[56:57]
	s_and_saveexec_b64 s[56:57], s[0:1]
	s_cbranch_execz .LBB0_163
.LBB0_166:                              ;   in Loop: Header=BB0_15 Depth=1
	ds_read_u16 v37, v56 offset:1026
	s_waitcnt lgkmcnt(0)
	v_perm_b32 v44, v37, v44, s65
	s_or_b64 exec, exec, s[56:57]
	s_and_saveexec_b64 s[56:57], s[2:3]
	s_cbranch_execnz .LBB0_164
.LBB0_167:                              ;   in Loop: Header=BB0_15 Depth=1
	s_or_b64 exec, exec, s[56:57]
	s_and_saveexec_b64 s[56:57], s[26:27]
	s_cbranch_execz .LBB0_169
.LBB0_168:                              ;   in Loop: Header=BB0_15 Depth=1
	ds_read_u16 v37, v57 offset:1024
	s_waitcnt lgkmcnt(0)
	v_perm_b32 v45, v37, v45, s65
.LBB0_169:                              ;   in Loop: Header=BB0_15 Depth=1
	s_or_b64 exec, exec, s[56:57]
	v_mov_b32_e32 v37, v36
	v_mov_b64_e32 v[46:47], v[36:37]
	s_and_saveexec_b64 s[56:57], vcc
	s_cbranch_execz .LBB0_173
; %bb.170:                              ;   in Loop: Header=BB0_15 Depth=1
	ds_read_u16 v37, v58
	v_mov_b32_e32 v47, v36
	s_waitcnt lgkmcnt(0)
	v_and_b32_e32 v46, 0xffff, v37
	s_or_b64 exec, exec, s[56:57]
	s_and_saveexec_b64 s[56:57], s[0:1]
	s_cbranch_execnz .LBB0_174
.LBB0_171:                              ;   in Loop: Header=BB0_15 Depth=1
	s_or_b64 exec, exec, s[56:57]
	s_and_saveexec_b64 s[0:1], s[2:3]
	s_cbranch_execz .LBB0_175
.LBB0_172:                              ;   in Loop: Header=BB0_15 Depth=1
	ds_read_u16 v37, v58 offset:4
	s_waitcnt lgkmcnt(0)
	v_bfi_b32 v47, s67, v37, v47
	s_or_b64 exec, exec, s[0:1]
	s_and_saveexec_b64 s[0:1], s[26:27]
	s_cbranch_execz .LBB0_14
	s_branch .LBB0_176
.LBB0_173:                              ;   in Loop: Header=BB0_15 Depth=1
	s_or_b64 exec, exec, s[56:57]
	s_and_saveexec_b64 s[56:57], s[0:1]
	s_cbranch_execz .LBB0_171
.LBB0_174:                              ;   in Loop: Header=BB0_15 Depth=1
	ds_read_u16 v37, v58 offset:2
	s_waitcnt lgkmcnt(0)
	v_perm_b32 v46, v37, v46, s65
	s_or_b64 exec, exec, s[56:57]
	s_and_saveexec_b64 s[0:1], s[2:3]
	s_cbranch_execnz .LBB0_172
.LBB0_175:                              ;   in Loop: Header=BB0_15 Depth=1
	s_or_b64 exec, exec, s[0:1]
	s_and_saveexec_b64 s[0:1], s[26:27]
	s_cbranch_execz .LBB0_14
.LBB0_176:                              ;   in Loop: Header=BB0_15 Depth=1
	ds_read_u16 v37, v59
	s_waitcnt lgkmcnt(0)
	v_perm_b32 v47, v37, v47, s65
	s_branch .LBB0_14
.LBB0_177:
	v_mov_b32_e32 v14, 0
	v_mov_b32_e32 v15, v14
	;; [unrolled: 1-line block ×4, first 2 shown]
	v_mov_b64_e32 v[2:3], v[14:15]
	v_mov_b64_e32 v[6:7], v[14:15]
	;; [unrolled: 1-line block ×6, first 2 shown]
.LBB0_178:
	s_lshl_b64 s[0:1], s[42:43], 6
	s_cmp_lg_u64 s[36:37], 0
	s_cbranch_scc0 .LBB0_220
; %bb.179:
	v_cmp_eq_u32_e32 vcc, 0, v50
	s_and_saveexec_b64 s[2:3], vcc
	s_cbranch_execz .LBB0_217
; %bb.180:
	v_cmp_le_u32_e32 vcc, s41, v51
	s_and_saveexec_b64 s[4:5], vcc
	s_xor_b64 s[4:5], exec, s[4:5]
; %bb.181:
	v_mov_b32_e32 v1, 1.0
	ds_write_b32 v24, v1 offset:4928
; %bb.182:
	s_andn2_saveexec_b64 s[4:5], s[4:5]
	s_cbranch_execz .LBB0_188
; %bb.183:
	v_add_u32_e32 v18, s34, v51
	v_ashrrev_i32_e32 v19, 31, v18
	v_lshl_add_u64 v[18:19], v[18:19], 1, s[36:37]
	global_load_ushort v1, v[18:19], off
	s_movk_i32 s6, 0x1f8
	s_waitcnt vmcnt(0)
	v_lshlrev_b32_e32 v1, 16, v1
	v_cmp_class_f32_e64 s[6:7], v1, s6
	s_and_saveexec_b64 s[8:9], s[6:7]
	s_xor_b64 s[6:7], exec, s[8:9]
	s_cbranch_execz .LBB0_185
; %bb.184:
	v_add_u32_e32 v20, 0x1000, v24
	ds_read2_b32 v[18:19], v20 offset0:144 offset1:160
	v_max_f32_e32 v21, v1, v1
	s_mov_b32 s8, 0xff800000
	s_waitcnt lgkmcnt(0)
	v_max_f32_e32 v23, v19, v19
	v_max_f32_e32 v21, v23, v21
	v_sub_f32_e32 v23, v19, v21
	v_sub_f32_e32 v1, v1, v21
	v_mul_f32_e32 v23, 0x3fb8aa3b, v23
	v_exp_f32_e32 v23, v23
	v_mul_f32_e32 v1, 0x3fb8aa3b, v1
	v_exp_f32_e32 v1, v1
	v_cmp_neq_f32_e32 vcc, s8, v19
	s_nop 1
	v_cndmask_b32_e32 v19, 0, v23, vcc
	v_mul_f32_e32 v23, v18, v19
	v_fmac_f32_e32 v1, v18, v19
	v_div_scale_f32 v18, s[8:9], v1, v1, v23
	v_rcp_f32_e32 v19, v18
	v_div_scale_f32 v26, vcc, v23, v1, v23
	v_fma_f32 v27, -v18, v19, 1.0
	v_fmac_f32_e32 v19, v27, v19
	v_mul_f32_e32 v27, v26, v19
	v_fma_f32 v28, -v18, v27, v26
	v_fmac_f32_e32 v27, v28, v19
	v_fma_f32 v18, -v18, v27, v26
	v_div_fmas_f32 v18, v18, v19, v27
	v_div_fixup_f32 v18, v18, v1, v23
	v_cmp_lt_f32_e32 vcc, 0, v1
	s_nop 1
	v_cndmask_b32_e32 v18, 1.0, v18, vcc
	ds_write_b32 v24, v18 offset:4928
	ds_write2_b32 v20, v1, v21 offset0:144 offset1:160
.LBB0_185:
	s_andn2_saveexec_b64 s[6:7], s[6:7]
; %bb.186:
	v_mov_b32_e32 v1, 1.0
	ds_write_b32 v24, v1 offset:4928
; %bb.187:
	s_or_b64 exec, exec, s[6:7]
.LBB0_188:
	s_or_b64 exec, exec, s[4:5]
	v_or_b32_e32 v1, 1, v22
	v_cmp_le_u32_e32 vcc, s33, v1
	s_and_saveexec_b64 s[4:5], vcc
	s_xor_b64 s[4:5], exec, s[4:5]
	s_cbranch_execz .LBB0_192
; %bb.189:
	v_cmp_gt_u32_e32 vcc, 64, v0
	s_and_saveexec_b64 s[6:7], vcc
; %bb.190:
	v_lshlrev_b32_e32 v1, 2, v22
	v_mov_b32_e32 v18, 1.0
	ds_write_b32 v1, v18 offset:4932
; %bb.191:
	s_or_b64 exec, exec, s[6:7]
.LBB0_192:
	s_andn2_saveexec_b64 s[4:5], s[4:5]
	s_cbranch_execz .LBB0_198
; %bb.193:
	s_ashr_i32 s35, s34, 31
	v_mov_b32_e32 v23, 0
	v_lshl_add_u64 v[18:19], v[22:23], 0, s[34:35]
	v_lshl_add_u64 v[18:19], v[18:19], 1, s[36:37]
	global_load_ushort v1, v[18:19], off offset:2
	s_movk_i32 s6, 0x1f8
	s_waitcnt vmcnt(0)
	v_lshlrev_b32_e32 v1, 16, v1
	v_cmp_class_f32_e64 s[6:7], v1, s6
	s_and_saveexec_b64 s[8:9], s[6:7]
	s_xor_b64 s[6:7], exec, s[8:9]
	s_cbranch_execz .LBB0_195
; %bb.194:
	v_lshlrev_b32_e32 v20, 2, v22
	v_add_u32_e32 v21, 0x1000, v20
	ds_read2_b32 v[18:19], v21 offset0:145 offset1:161
	v_max_f32_e32 v23, v1, v1
	s_mov_b32 s8, 0xff800000
	s_waitcnt lgkmcnt(0)
	v_max_f32_e32 v26, v19, v19
	v_max_f32_e32 v23, v26, v23
	v_sub_f32_e32 v26, v19, v23
	v_sub_f32_e32 v1, v1, v23
	v_mul_f32_e32 v26, 0x3fb8aa3b, v26
	v_exp_f32_e32 v26, v26
	v_mul_f32_e32 v1, 0x3fb8aa3b, v1
	v_exp_f32_e32 v1, v1
	v_cmp_neq_f32_e32 vcc, s8, v19
	s_nop 1
	v_cndmask_b32_e32 v19, 0, v26, vcc
	v_mul_f32_e32 v26, v18, v19
	v_fmac_f32_e32 v1, v18, v19
	v_div_scale_f32 v18, s[8:9], v1, v1, v26
	v_rcp_f32_e32 v19, v18
	v_div_scale_f32 v27, vcc, v26, v1, v26
	v_fma_f32 v28, -v18, v19, 1.0
	v_fmac_f32_e32 v19, v28, v19
	v_mul_f32_e32 v28, v27, v19
	v_fma_f32 v29, -v18, v28, v27
	v_fmac_f32_e32 v28, v29, v19
	v_fma_f32 v18, -v18, v28, v27
	v_div_fmas_f32 v18, v18, v19, v28
	v_div_fixup_f32 v18, v18, v1, v26
	v_cmp_lt_f32_e32 vcc, 0, v1
	s_nop 1
	v_cndmask_b32_e32 v18, 1.0, v18, vcc
	ds_write_b32 v20, v18 offset:4932
	ds_write2_b32 v21, v1, v23 offset0:145 offset1:161
.LBB0_195:
	s_andn2_saveexec_b64 s[6:7], s[6:7]
; %bb.196:
	v_lshlrev_b32_e32 v1, 2, v22
	v_mov_b32_e32 v18, 1.0
	ds_write_b32 v1, v18 offset:4932
; %bb.197:
	s_or_b64 exec, exec, s[6:7]
.LBB0_198:
	s_or_b64 exec, exec, s[4:5]
	v_or_b32_e32 v1, 2, v22
	v_cmp_le_u32_e32 vcc, s33, v1
	s_and_saveexec_b64 s[4:5], vcc
	s_xor_b64 s[4:5], exec, s[4:5]
	s_cbranch_execz .LBB0_202
; %bb.199:
	v_cmp_gt_u32_e32 vcc, 64, v0
	s_and_saveexec_b64 s[6:7], vcc
; %bb.200:
	v_lshlrev_b32_e32 v1, 2, v22
	v_mov_b32_e32 v18, 1.0
	ds_write_b32 v1, v18 offset:4936
; %bb.201:
	s_or_b64 exec, exec, s[6:7]
.LBB0_202:
	s_andn2_saveexec_b64 s[4:5], s[4:5]
	s_cbranch_execz .LBB0_208
; %bb.203:
	s_ashr_i32 s35, s34, 31
	v_mov_b32_e32 v23, 0
	v_lshl_add_u64 v[18:19], v[22:23], 0, s[34:35]
	v_lshl_add_u64 v[18:19], v[18:19], 1, s[36:37]
	global_load_ushort v1, v[18:19], off offset:4
	s_movk_i32 s6, 0x1f8
	s_waitcnt vmcnt(0)
	v_lshlrev_b32_e32 v1, 16, v1
	v_cmp_class_f32_e64 s[6:7], v1, s6
	s_and_saveexec_b64 s[8:9], s[6:7]
	s_xor_b64 s[6:7], exec, s[8:9]
	s_cbranch_execz .LBB0_205
; %bb.204:
	v_lshlrev_b32_e32 v20, 2, v22
	v_add_u32_e32 v21, 0x1000, v20
	ds_read2_b32 v[18:19], v21 offset0:146 offset1:162
	v_max_f32_e32 v23, v1, v1
	s_mov_b32 s8, 0xff800000
	s_waitcnt lgkmcnt(0)
	v_max_f32_e32 v26, v19, v19
	v_max_f32_e32 v23, v26, v23
	v_sub_f32_e32 v26, v19, v23
	v_sub_f32_e32 v1, v1, v23
	v_mul_f32_e32 v26, 0x3fb8aa3b, v26
	v_exp_f32_e32 v26, v26
	v_mul_f32_e32 v1, 0x3fb8aa3b, v1
	v_exp_f32_e32 v1, v1
	v_cmp_neq_f32_e32 vcc, s8, v19
	s_nop 1
	v_cndmask_b32_e32 v19, 0, v26, vcc
	v_mul_f32_e32 v26, v18, v19
	v_fmac_f32_e32 v1, v18, v19
	v_div_scale_f32 v18, s[8:9], v1, v1, v26
	v_rcp_f32_e32 v19, v18
	v_div_scale_f32 v27, vcc, v26, v1, v26
	v_fma_f32 v28, -v18, v19, 1.0
	v_fmac_f32_e32 v19, v28, v19
	v_mul_f32_e32 v28, v27, v19
	v_fma_f32 v29, -v18, v28, v27
	v_fmac_f32_e32 v28, v29, v19
	v_fma_f32 v18, -v18, v28, v27
	v_div_fmas_f32 v18, v18, v19, v28
	v_div_fixup_f32 v18, v18, v1, v26
	v_cmp_lt_f32_e32 vcc, 0, v1
	s_nop 1
	v_cndmask_b32_e32 v18, 1.0, v18, vcc
	ds_write_b32 v20, v18 offset:4936
	ds_write2_b32 v21, v1, v23 offset0:146 offset1:162
.LBB0_205:
	s_andn2_saveexec_b64 s[6:7], s[6:7]
; %bb.206:
	v_lshlrev_b32_e32 v1, 2, v22
	v_mov_b32_e32 v18, 1.0
	ds_write_b32 v1, v18 offset:4936
; %bb.207:
	s_or_b64 exec, exec, s[6:7]
.LBB0_208:
	s_or_b64 exec, exec, s[4:5]
	v_cmp_le_u32_e32 vcc, s33, v25
	s_and_saveexec_b64 s[4:5], vcc
	s_xor_b64 s[4:5], exec, s[4:5]
	s_cbranch_execz .LBB0_212
; %bb.209:
	v_cmp_gt_u32_e32 vcc, 64, v0
	s_and_saveexec_b64 s[6:7], vcc
; %bb.210:
	v_lshlrev_b32_e32 v1, 2, v22
	v_mov_b32_e32 v18, 1.0
	ds_write_b32 v1, v18 offset:4940
; %bb.211:
	s_or_b64 exec, exec, s[6:7]
.LBB0_212:
	s_andn2_saveexec_b64 s[4:5], s[4:5]
	s_cbranch_execz .LBB0_217
; %bb.213:
	s_ashr_i32 s35, s34, 31
	v_mov_b32_e32 v23, 0
	v_lshl_add_u64 v[18:19], v[22:23], 0, s[34:35]
	v_lshl_add_u64 v[18:19], v[18:19], 1, s[36:37]
	global_load_ushort v1, v[18:19], off offset:6
	s_movk_i32 s4, 0x1f8
	s_waitcnt vmcnt(0)
	v_lshlrev_b32_e32 v18, 16, v1
	v_cmp_class_f32_e64 s[4:5], v18, s4
	v_lshlrev_b32_e32 v1, 2, v22
	s_and_saveexec_b64 s[6:7], s[4:5]
	s_xor_b64 s[4:5], exec, s[6:7]
	s_cbranch_execz .LBB0_215
; %bb.214:
	v_add_u32_e32 v19, 0x1000, v1
	ds_read2_b32 v[20:21], v19 offset0:147 offset1:163
	v_max_f32_e32 v23, v18, v18
	s_mov_b32 s6, 0xff800000
	s_waitcnt lgkmcnt(0)
	v_max_f32_e32 v26, v21, v21
	v_max_f32_e32 v23, v26, v23
	v_sub_f32_e32 v26, v21, v23
	v_sub_f32_e32 v18, v18, v23
	v_mul_f32_e32 v26, 0x3fb8aa3b, v26
	v_exp_f32_e32 v26, v26
	v_mul_f32_e32 v18, 0x3fb8aa3b, v18
	v_exp_f32_e32 v18, v18
	v_cmp_neq_f32_e32 vcc, s6, v21
	s_nop 1
	v_cndmask_b32_e32 v21, 0, v26, vcc
	v_mul_f32_e32 v26, v20, v21
	v_fmac_f32_e32 v18, v20, v21
	v_div_scale_f32 v20, s[6:7], v18, v18, v26
	v_rcp_f32_e32 v21, v20
	v_div_scale_f32 v27, vcc, v26, v18, v26
	v_fma_f32 v28, -v20, v21, 1.0
	v_fmac_f32_e32 v21, v28, v21
	v_mul_f32_e32 v28, v27, v21
	v_fma_f32 v29, -v20, v28, v27
	v_fmac_f32_e32 v28, v29, v21
	v_fma_f32 v20, -v20, v28, v27
	v_div_fmas_f32 v20, v20, v21, v28
	v_div_fixup_f32 v20, v20, v18, v26
	v_cmp_lt_f32_e32 vcc, 0, v18
	s_nop 1
	v_cndmask_b32_e32 v20, 1.0, v20, vcc
	ds_write_b32 v1, v20 offset:4940
	ds_write2_b32 v19, v18, v23 offset0:147 offset1:163
                                        ; implicit-def: $vgpr1
.LBB0_215:
	s_andn2_saveexec_b64 s[4:5], s[4:5]
; %bb.216:
	v_mov_b32_e32 v18, 1.0
	ds_write_b32 v1, v18 offset:4940
.LBB0_217:
	s_or_b64 exec, exec, s[2:3]
	s_waitcnt lgkmcnt(0)
	s_barrier
	ds_read_b96 v[18:20], v24 offset:4928
	v_cmp_gt_u32_e32 vcc, 64, v0
	v_mov_b32_e32 v1, 1.0
	s_and_saveexec_b64 s[2:3], vcc
; %bb.218:
	v_lshl_or_b32 v1, v22, 2, 12
	ds_read_b32 v1, v1 offset:4928
; %bb.219:
	s_or_b64 exec, exec, s[2:3]
	s_waitcnt lgkmcnt(0)
	v_pk_mul_f32 v[10:11], v[10:11], v[18:19]
	v_pk_mul_f32 v[14:15], v[14:15], v[18:19]
	;; [unrolled: 1-line block ×4, first 2 shown]
	v_mul_f32_e32 v16, v16, v20
	v_mul_f32_e32 v4, v4, v20
	;; [unrolled: 1-line block ×8, first 2 shown]
.LBB0_220:
	s_lshl_b64 s[0:1], s[0:1], 2
	s_add_u32 s0, s38, s0
	v_or_b32_e32 v18, 48, v0
	s_addc_u32 s1, s39, s1
	v_mov_b32_e32 v1, 0
	v_cmp_gt_u32_e32 vcc, s41, v51
	v_lshlrev_b32_e32 v0, 2, v50
	v_lshlrev_b32_e32 v18, 2, v18
	s_and_saveexec_b64 s[2:3], vcc
	s_cbranch_execz .LBB0_224
; %bb.221:
	v_add_u32_e32 v20, s34, v51
	v_ashrrev_i32_e32 v21, 31, v20
	v_lshlrev_b64 v[20:21], 8, v[20:21]
	v_lshl_add_u64 v[20:21], s[0:1], 0, v[20:21]
	v_mov_b32_e32 v19, v1
	v_lshl_add_u64 v[22:23], v[20:21], 0, v[0:1]
	v_lshl_add_u64 v[20:21], v[20:21], 0, v[18:19]
	global_store_dword v[22:23], v14, off
	global_store_dword v[22:23], v2, off offset:64
	global_store_dword v[22:23], v6, off offset:128
	global_store_dword v[20:21], v10, off
	s_or_b64 exec, exec, s[2:3]
	v_cmp_gt_u32_e32 vcc, s33, v53
	s_and_saveexec_b64 s[2:3], vcc
	s_cbranch_execnz .LBB0_225
.LBB0_222:
	s_or_b64 exec, exec, s[2:3]
	v_cmp_gt_u32_e32 vcc, s33, v52
	s_and_saveexec_b64 s[2:3], vcc
	s_cbranch_execz .LBB0_226
.LBB0_223:
	v_add_u32_e32 v2, s34, v52
	v_ashrrev_i32_e32 v3, 31, v2
	v_lshlrev_b64 v[2:3], 8, v[2:3]
	v_mov_b32_e32 v1, 0
	v_lshl_add_u64 v[2:3], s[0:1], 0, v[2:3]
	v_mov_b32_e32 v19, v1
	v_lshl_add_u64 v[6:7], v[2:3], 0, v[0:1]
	v_lshl_add_u64 v[2:3], v[2:3], 0, v[18:19]
	global_store_dword v[6:7], v16, off
	global_store_dword v[6:7], v4, off offset:64
	global_store_dword v[6:7], v8, off offset:128
	global_store_dword v[2:3], v12, off
	s_or_b64 exec, exec, s[2:3]
	v_cmp_gt_u32_e32 vcc, s33, v25
	s_and_b64 exec, exec, vcc
	s_cbranch_execnz .LBB0_227
	s_branch .LBB0_228
.LBB0_224:
	s_or_b64 exec, exec, s[2:3]
	v_cmp_gt_u32_e32 vcc, s33, v53
	s_and_saveexec_b64 s[2:3], vcc
	s_cbranch_execz .LBB0_222
.LBB0_225:
	v_add_u32_e32 v20, s34, v53
	v_ashrrev_i32_e32 v21, 31, v20
	v_lshlrev_b64 v[20:21], 8, v[20:21]
	v_lshl_add_u64 v[20:21], s[0:1], 0, v[20:21]
	v_mov_b32_e32 v1, 0
	v_lshl_add_u64 v[22:23], v[20:21], 0, v[0:1]
	v_mov_b32_e32 v19, v1
	global_store_dword v[22:23], v15, off
	global_store_dword v[22:23], v3, off offset:64
	global_store_dword v[22:23], v7, off offset:128
	v_lshl_add_u64 v[2:3], v[20:21], 0, v[18:19]
	global_store_dword v[2:3], v11, off
	s_or_b64 exec, exec, s[2:3]
	v_cmp_gt_u32_e32 vcc, s33, v52
	s_and_saveexec_b64 s[2:3], vcc
	s_cbranch_execnz .LBB0_223
.LBB0_226:
	s_or_b64 exec, exec, s[2:3]
	v_cmp_gt_u32_e32 vcc, s33, v25
	s_and_b64 exec, exec, vcc
	s_cbranch_execz .LBB0_228
.LBB0_227:
	v_add_u32_e32 v2, s34, v25
	v_ashrrev_i32_e32 v3, 31, v2
	v_lshlrev_b64 v[2:3], 8, v[2:3]
	v_mov_b32_e32 v1, 0
	v_lshl_add_u64 v[2:3], s[0:1], 0, v[2:3]
	v_mov_b32_e32 v19, v1
	v_lshl_add_u64 v[6:7], v[2:3], 0, v[0:1]
	v_lshl_add_u64 v[0:1], v[2:3], 0, v[18:19]
	global_store_dword v[6:7], v17, off
	global_store_dword v[6:7], v5, off offset:64
	global_store_dword v[6:7], v9, off offset:128
	global_store_dword v[0:1], v13, off
.LBB0_228:
	s_endpgm
	.section	.rodata,"a",@progbits
	.p2align	6, 0x0
	.amdhsa_kernel _Z22fa2_decode_mfma_head64I14__hip_bfloat16Lb1ELi16ELi16EEvPKfPKvS4_S2_PKS0_PfiiiiiiiiPKiS9_xPKxS9_S9_i
		.amdhsa_group_segment_fixed_size 4992
		.amdhsa_private_segment_fixed_size 0
		.amdhsa_kernarg_size 132
		.amdhsa_user_sgpr_count 2
		.amdhsa_user_sgpr_dispatch_ptr 0
		.amdhsa_user_sgpr_queue_ptr 0
		.amdhsa_user_sgpr_kernarg_segment_ptr 1
		.amdhsa_user_sgpr_dispatch_id 0
		.amdhsa_user_sgpr_kernarg_preload_length 0
		.amdhsa_user_sgpr_kernarg_preload_offset 0
		.amdhsa_user_sgpr_private_segment_size 0
		.amdhsa_uses_dynamic_stack 0
		.amdhsa_enable_private_segment 0
		.amdhsa_system_sgpr_workgroup_id_x 1
		.amdhsa_system_sgpr_workgroup_id_y 1
		.amdhsa_system_sgpr_workgroup_id_z 0
		.amdhsa_system_sgpr_workgroup_info 0
		.amdhsa_system_vgpr_workitem_id 0
		.amdhsa_next_free_vgpr 96
		.amdhsa_next_free_sgpr 76
		.amdhsa_accum_offset 96
		.amdhsa_reserve_vcc 1
		.amdhsa_float_round_mode_32 0
		.amdhsa_float_round_mode_16_64 0
		.amdhsa_float_denorm_mode_32 3
		.amdhsa_float_denorm_mode_16_64 3
		.amdhsa_dx10_clamp 1
		.amdhsa_ieee_mode 1
		.amdhsa_fp16_overflow 0
		.amdhsa_tg_split 0
		.amdhsa_exception_fp_ieee_invalid_op 0
		.amdhsa_exception_fp_denorm_src 0
		.amdhsa_exception_fp_ieee_div_zero 0
		.amdhsa_exception_fp_ieee_overflow 0
		.amdhsa_exception_fp_ieee_underflow 0
		.amdhsa_exception_fp_ieee_inexact 0
		.amdhsa_exception_int_div_zero 0
	.end_amdhsa_kernel
	.section	.text._Z22fa2_decode_mfma_head64I14__hip_bfloat16Lb1ELi16ELi16EEvPKfPKvS4_S2_PKS0_PfiiiiiiiiPKiS9_xPKxS9_S9_i,"axG",@progbits,_Z22fa2_decode_mfma_head64I14__hip_bfloat16Lb1ELi16ELi16EEvPKfPKvS4_S2_PKS0_PfiiiiiiiiPKiS9_xPKxS9_S9_i,comdat
.Lfunc_end0:
	.size	_Z22fa2_decode_mfma_head64I14__hip_bfloat16Lb1ELi16ELi16EEvPKfPKvS4_S2_PKS0_PfiiiiiiiiPKiS9_xPKxS9_S9_i, .Lfunc_end0-_Z22fa2_decode_mfma_head64I14__hip_bfloat16Lb1ELi16ELi16EEvPKfPKvS4_S2_PKS0_PfiiiiiiiiPKiS9_xPKxS9_S9_i
                                        ; -- End function
	.set _Z22fa2_decode_mfma_head64I14__hip_bfloat16Lb1ELi16ELi16EEvPKfPKvS4_S2_PKS0_PfiiiiiiiiPKiS9_xPKxS9_S9_i.num_vgpr, 96
	.set _Z22fa2_decode_mfma_head64I14__hip_bfloat16Lb1ELi16ELi16EEvPKfPKvS4_S2_PKS0_PfiiiiiiiiPKiS9_xPKxS9_S9_i.num_agpr, 0
	.set _Z22fa2_decode_mfma_head64I14__hip_bfloat16Lb1ELi16ELi16EEvPKfPKvS4_S2_PKS0_PfiiiiiiiiPKiS9_xPKxS9_S9_i.numbered_sgpr, 76
	.set _Z22fa2_decode_mfma_head64I14__hip_bfloat16Lb1ELi16ELi16EEvPKfPKvS4_S2_PKS0_PfiiiiiiiiPKiS9_xPKxS9_S9_i.num_named_barrier, 0
	.set _Z22fa2_decode_mfma_head64I14__hip_bfloat16Lb1ELi16ELi16EEvPKfPKvS4_S2_PKS0_PfiiiiiiiiPKiS9_xPKxS9_S9_i.private_seg_size, 0
	.set _Z22fa2_decode_mfma_head64I14__hip_bfloat16Lb1ELi16ELi16EEvPKfPKvS4_S2_PKS0_PfiiiiiiiiPKiS9_xPKxS9_S9_i.uses_vcc, 1
	.set _Z22fa2_decode_mfma_head64I14__hip_bfloat16Lb1ELi16ELi16EEvPKfPKvS4_S2_PKS0_PfiiiiiiiiPKiS9_xPKxS9_S9_i.uses_flat_scratch, 0
	.set _Z22fa2_decode_mfma_head64I14__hip_bfloat16Lb1ELi16ELi16EEvPKfPKvS4_S2_PKS0_PfiiiiiiiiPKiS9_xPKxS9_S9_i.has_dyn_sized_stack, 0
	.set _Z22fa2_decode_mfma_head64I14__hip_bfloat16Lb1ELi16ELi16EEvPKfPKvS4_S2_PKS0_PfiiiiiiiiPKiS9_xPKxS9_S9_i.has_recursion, 0
	.set _Z22fa2_decode_mfma_head64I14__hip_bfloat16Lb1ELi16ELi16EEvPKfPKvS4_S2_PKS0_PfiiiiiiiiPKiS9_xPKxS9_S9_i.has_indirect_call, 0
	.section	.AMDGPU.csdata,"",@progbits
; Kernel info:
; codeLenInByte = 9708
; TotalNumSgprs: 82
; NumVgprs: 96
; NumAgprs: 0
; TotalNumVgprs: 96
; ScratchSize: 0
; MemoryBound: 0
; FloatMode: 240
; IeeeMode: 1
; LDSByteSize: 4992 bytes/workgroup (compile time only)
; SGPRBlocks: 10
; VGPRBlocks: 11
; NumSGPRsForWavesPerEU: 82
; NumVGPRsForWavesPerEU: 96
; AccumOffset: 96
; Occupancy: 5
; WaveLimiterHint : 1
; COMPUTE_PGM_RSRC2:SCRATCH_EN: 0
; COMPUTE_PGM_RSRC2:USER_SGPR: 2
; COMPUTE_PGM_RSRC2:TRAP_HANDLER: 0
; COMPUTE_PGM_RSRC2:TGID_X_EN: 1
; COMPUTE_PGM_RSRC2:TGID_Y_EN: 1
; COMPUTE_PGM_RSRC2:TGID_Z_EN: 0
; COMPUTE_PGM_RSRC2:TIDIG_COMP_CNT: 0
; COMPUTE_PGM_RSRC3_GFX90A:ACCUM_OFFSET: 23
; COMPUTE_PGM_RSRC3_GFX90A:TG_SPLIT: 0
	.section	.text._Z22fa2_decode_mfma_head64I14__hip_bfloat16Lb0ELi16ELi16EEvPKfPKvS4_S2_PKS0_PfiiiiiiiiPKiS9_xPKxS9_S9_i,"axG",@progbits,_Z22fa2_decode_mfma_head64I14__hip_bfloat16Lb0ELi16ELi16EEvPKfPKvS4_S2_PKS0_PfiiiiiiiiPKiS9_xPKxS9_S9_i,comdat
	.protected	_Z22fa2_decode_mfma_head64I14__hip_bfloat16Lb0ELi16ELi16EEvPKfPKvS4_S2_PKS0_PfiiiiiiiiPKiS9_xPKxS9_S9_i ; -- Begin function _Z22fa2_decode_mfma_head64I14__hip_bfloat16Lb0ELi16ELi16EEvPKfPKvS4_S2_PKS0_PfiiiiiiiiPKiS9_xPKxS9_S9_i
	.globl	_Z22fa2_decode_mfma_head64I14__hip_bfloat16Lb0ELi16ELi16EEvPKfPKvS4_S2_PKS0_PfiiiiiiiiPKiS9_xPKxS9_S9_i
	.p2align	8
	.type	_Z22fa2_decode_mfma_head64I14__hip_bfloat16Lb0ELi16ELi16EEvPKfPKvS4_S2_PKS0_PfiiiiiiiiPKiS9_xPKxS9_S9_i,@function
_Z22fa2_decode_mfma_head64I14__hip_bfloat16Lb0ELi16ELi16EEvPKfPKvS4_S2_PKS0_PfiiiiiiiiPKiS9_xPKxS9_S9_i: ; @_Z22fa2_decode_mfma_head64I14__hip_bfloat16Lb0ELi16ELi16EEvPKfPKvS4_S2_PKS0_PfiiiiiiiiPKiS9_xPKxS9_S9_i
; %bb.0:
	s_mov_b32 s14, s3
	s_load_dword s3, s[0:1], 0x30
	s_load_dwordx2 s[48:49], s[0:1], 0x3c
	v_cmp_gt_u32_e32 vcc, 64, v0
	s_waitcnt lgkmcnt(0)
	s_cmp_lt_i32 s14, s3
	s_cselect_b64 s[4:5], -1, 0
	s_and_b64 s[4:5], vcc, s[4:5]
	s_cmp_gt_i32 s49, 0
	s_cselect_b64 s[6:7], -1, 0
	s_and_b64 s[4:5], s[4:5], s[6:7]
	s_and_saveexec_b64 s[6:7], s[4:5]
	s_cbranch_execz .LBB1_204
; %bb.1:
	s_load_dwordx2 s[16:17], s[0:1], 0x48
	s_mul_i32 s42, s49, s2
	s_waitcnt lgkmcnt(0)
	s_cmp_ge_i32 s42, s17
	s_cbranch_scc1 .LBB1_204
; %bb.2:
	s_load_dwordx4 s[8:11], s[0:1], 0x50
	s_load_dwordx2 s[6:7], s[0:1], 0x78
	s_load_dwordx4 s[20:23], s[0:1], 0x68
	s_load_dwordx2 s[18:19], s[0:1], 0x0
	s_ashr_i32 s15, s14, 31
	s_lshl_b64 s[24:25], s[14:15], 2
	s_waitcnt lgkmcnt(0)
	s_add_u32 s4, s8, s24
	s_addc_u32 s5, s9, s25
	s_ashr_i32 s9, s16, 31
	s_mov_b32 s8, s16
	s_lshl_b64 s[12:13], s[8:9], 2
	s_add_u32 s6, s6, s12
	s_addc_u32 s7, s7, s13
	s_lshl_b64 s[8:9], s[8:9], 3
	s_add_u32 s8, s20, s8
	s_addc_u32 s9, s21, s9
	s_add_u32 s12, s22, s12
	s_addc_u32 s13, s23, s13
	;; [unrolled: 2-line block ×3, first 2 shown]
	v_cmp_gt_u32_e64 s[40:41], 16, v0
	s_and_saveexec_b64 s[20:21], s[40:41]
; %bb.3:
	v_lshlrev_b32_e32 v1, 2, v0
	v_mov_b32_e32 v2, 0xff800000
	v_mov_b32_e32 v3, 0
	v_add_u32_e32 v1, 0x1000, v1
	ds_write2_b32 v1, v3, v2 offset0:144 offset1:160
; %bb.4:
	s_or_b64 exec, exec, s[20:21]
	s_mul_hi_i32 s51, s14, s17
	s_mul_i32 s50, s14, s17
	v_and_b32_e32 v48, 15, v0
	s_lshl_b64 s[14:15], s[50:51], 8
	v_rsq_f32_e32 v2, 0x42800000
	v_add_u32_e32 v4, s42, v48
	s_add_u32 s14, s18, s14
	v_ashrrev_i32_e32 v5, 31, v4
	v_lshrrev_b32_e32 v22, 2, v0
	s_addc_u32 s15, s19, s15
	v_lshlrev_b64 v[4:5], 8, v[4:5]
	v_and_b32_e32 v49, 12, v22
	v_cmp_gt_u32_e64 s[38:39], s49, v48
	v_lshl_add_u64 v[4:5], s[14:15], 0, v[4:5]
	v_mov_b32_e32 v26, 0
	v_lshlrev_b32_e32 v24, 2, v49
	v_mov_b32_e32 v28, 0
	v_mov_b32_e32 v29, 0
	s_waitcnt lgkmcnt(0)
	s_barrier
	s_and_saveexec_b64 s[14:15], s[38:39]
	s_cbranch_execz .LBB1_6
; %bb.5:
	v_mov_b32_e32 v25, 0
	v_lshl_add_u64 v[6:7], v[4:5], 0, v[24:25]
	v_lshl_or_b32 v10, v22, 2, 12
	v_mov_b32_e32 v11, v25
	global_load_dwordx3 v[6:8], v[6:7], off
	v_lshl_add_u64 v[10:11], v[4:5], 0, v[10:11]
	global_load_dword v9, v[10:11], off
	s_waitcnt vmcnt(1)
	v_pk_mul_f32 v[6:7], v[2:3], v[6:7] op_sel_hi:[0,1]
	v_cvt_pk_bf16_f32 v28, v6, v7
	s_waitcnt vmcnt(0)
	v_pk_mul_f32 v[6:7], v[2:3], v[8:9] op_sel_hi:[0,1]
	v_cvt_pk_bf16_f32 v29, v6, v7
.LBB1_6:
	s_or_b64 exec, exec, s[14:15]
	v_mov_b32_e32 v27, 0
	s_and_saveexec_b64 s[14:15], s[38:39]
	s_cbranch_execz .LBB1_8
; %bb.7:
	v_mov_b32_e32 v25, 0
	v_mov_b32_e32 v1, 0x4c
	v_lshl_add_u64 v[6:7], v[4:5], 0, v[24:25]
	v_lshl_or_b32 v10, v22, 2, v1
	v_mov_b32_e32 v11, v25
	global_load_dwordx3 v[6:8], v[6:7], off offset:64
	v_lshl_add_u64 v[10:11], v[4:5], 0, v[10:11]
	global_load_dword v9, v[10:11], off
	s_waitcnt vmcnt(1)
	v_pk_mul_f32 v[6:7], v[2:3], v[6:7] op_sel_hi:[0,1]
	v_cvt_pk_bf16_f32 v26, v6, v7
	s_waitcnt vmcnt(0)
	v_pk_mul_f32 v[6:7], v[2:3], v[8:9] op_sel_hi:[0,1]
	v_cvt_pk_bf16_f32 v27, v6, v7
.LBB1_8:
	s_or_b64 exec, exec, s[14:15]
	v_mov_b32_e32 v30, 0
	v_mov_b32_e32 v32, 0
	;; [unrolled: 1-line block ×3, first 2 shown]
	s_and_saveexec_b64 s[14:15], s[38:39]
	s_cbranch_execz .LBB1_10
; %bb.9:
	v_mov_b32_e32 v25, 0
	v_mov_b32_e32 v1, 0x8c
	v_lshl_add_u64 v[6:7], v[4:5], 0, v[24:25]
	v_lshl_or_b32 v10, v22, 2, v1
	v_mov_b32_e32 v11, v25
	global_load_dwordx3 v[6:8], v[6:7], off offset:128
	v_lshl_add_u64 v[10:11], v[4:5], 0, v[10:11]
	global_load_dword v9, v[10:11], off
	s_waitcnt vmcnt(1)
	v_pk_mul_f32 v[6:7], v[2:3], v[6:7] op_sel_hi:[0,1]
	v_cvt_pk_bf16_f32 v32, v6, v7
	s_waitcnt vmcnt(0)
	v_pk_mul_f32 v[6:7], v[2:3], v[8:9] op_sel_hi:[0,1]
	v_cvt_pk_bf16_f32 v33, v6, v7
.LBB1_10:
	s_or_b64 exec, exec, s[14:15]
	s_load_dword s43, s[4:5], 0x0
	s_load_dword s3, s[6:7], 0x0
	;; [unrolled: 1-line block ×3, first 2 shown]
	v_mov_b32_e32 v31, 0
	s_and_saveexec_b64 s[4:5], s[38:39]
	s_cbranch_execz .LBB1_12
; %bb.11:
	v_mov_b32_e32 v25, 0
	v_mov_b32_e32 v1, 0xcc
	v_lshl_add_u64 v[6:7], v[4:5], 0, v[24:25]
	v_lshl_or_b32 v10, v22, 2, v1
	v_mov_b32_e32 v11, v25
	global_load_dwordx3 v[6:8], v[6:7], off offset:192
	v_lshl_add_u64 v[4:5], v[4:5], 0, v[10:11]
	global_load_dword v5, v[4:5], off
	s_waitcnt vmcnt(1)
	v_mov_b32_e32 v4, v8
	v_pk_mul_f32 v[6:7], v[2:3], v[6:7] op_sel_hi:[0,1]
	s_waitcnt vmcnt(0)
	v_pk_mul_f32 v[2:3], v[2:3], v[4:5] op_sel_hi:[0,1]
	v_cvt_pk_bf16_f32 v30, v6, v7
	v_cvt_pk_bf16_f32 v31, v2, v3
.LBB1_12:
	s_or_b64 exec, exec, s[4:5]
	s_waitcnt lgkmcnt(0)
	s_sub_i32 s4, s43, s62
	s_max_i32 s4, s4, -1
	s_add_i32 s6, s4, 1
	s_load_dwordx4 s[44:47], s[0:1], 0x20
	s_cmp_lg_u32 s3, 0
	s_cselect_b64 s[52:53], -1, 0
	s_and_b64 s[4:5], s[52:53], exec
	s_cselect_b32 s63, s6, 0
	s_min_u32 s33, s49, 16
	s_mov_b32 s64, 0
	s_cmp_le_i32 s63, s43
	v_cmp_gt_u32_e64 s[4:5], s49, v49
	v_cmp_eq_u32_e64 s[6:7], 0, v48
	v_or_b32_e32 v51, 1, v49
	v_or_b32_e32 v50, 2, v49
	;; [unrolled: 1-line block ×3, first 2 shown]
	s_cbranch_scc0 .LBB1_156
; %bb.13:
	s_load_dword s3, s[0:1], 0x80
	s_load_dwordx4 s[12:15], s[0:1], 0x8
	s_load_dwordx2 s[16:17], s[8:9], 0x0
	s_load_dword s18, s[10:11], 0x0
	v_mov_b32_e32 v7, 0x800
	s_waitcnt lgkmcnt(0)
	s_add_i32 s0, s3, -1
	s_cmp_lt_u32 s0, 16
	s_cselect_b32 s65, s3, 16
	s_add_i32 s67, s62, -1
	s_add_i32 s66, s43, 1
	s_and_b32 s0, s62, s67
	s_cmp_lg_u32 s0, 0
	s_cselect_b64 s[54:55], -1, 0
	s_ashr_i32 s0, s18, 31
	s_mul_i32 s3, s62, s48
	v_lshl_or_b32 v7, v48, 5, v7
	v_lshlrev_b32_e32 v8, 1, v49
	v_lshlrev_b32_e32 v9, 1, v25
	s_mul_hi_i32 s1, s62, s48
	s_mul_i32 s0, s3, s0
	s_mul_hi_u32 s10, s3, s18
	v_or_b32_e32 v54, v7, v8
	v_add_u32_e32 v55, v7, v9
	v_lshlrev_b32_e32 v7, 5, v0
	s_add_i32 s0, s10, s0
	s_mul_i32 s1, s1, s18
	v_or_b32_e32 v10, 0x600, v7
	s_ashr_i32 s9, s48, 31
	s_add_i32 s1, s0, s1
	s_mul_i32 s3, s3, s18
	v_mbcnt_lo_u32_b32 v2, -1, 0
	v_add_u32_e32 v10, 0x800, v10
	v_add_u32_e32 v58, 0x800, v7
	v_lshlrev_b32_e32 v7, 1, v22
	s_add_u32 s0, s3, s16
	v_lshlrev_b32_e32 v1, 7, v48
	v_mbcnt_hi_u32_b32 v2, -1, v2
	v_or_b32_e32 v56, v10, v8
	v_add_u32_e32 v57, v10, v9
	v_or_b32_e32 v10, 38, v7
	s_addc_u32 s1, s1, s17
	v_bitop3_b32 v4, v2, 15, v2 bitop3:0xc
	v_add_u32_e32 v61, v1, v10
	v_or_b32_e32 v10, 0x46, v7
	v_or_b32_e32 v7, 0x66, v7
	s_lshl_b64 s[10:11], s[0:1], 1
	v_or_b32_e32 v59, v1, v8
	v_add_u32_e32 v60, v1, v9
	v_add_u32_e32 v62, v1, v10
	;; [unrolled: 1-line block ×3, first 2 shown]
	v_bitop3_b32 v1, v2, 8, 15 bitop3:8
	v_cmp_gt_u32_e32 vcc, 4, v4
	s_add_u32 s0, s12, s10
	v_and_b32_e32 v3, 15, v2
	v_add_lshl_u32 v64, v1, v2, 2
	v_cndmask_b32_e64 v1, 4, 0, vcc
	v_cmp_gt_u32_e32 vcc, 2, v4
	s_addc_u32 s1, s13, s11
	v_add_lshl_u32 v65, v1, v2, 2
	v_cndmask_b32_e64 v1, 2, 0, vcc
	v_cmp_ne_u32_e32 vcc, 15, v3
	s_add_u32 s26, s14, s10
	v_add_lshl_u32 v66, v1, v2, 2
	v_addc_co_u32_e32 v1, vcc, 0, v2, vcc
	s_mov_b32 s8, s48
	s_addc_u32 s27, s15, s11
	v_lshlrev_b32_e32 v67, 2, v1
	v_lshlrev_b32_e32 v1, 2, v25
	s_abs_i32 s48, s62
	v_add_u32_e32 v70, 0x1200, v1
	v_add_u32_e32 v71, 0x1280, v1
	v_add_u32_e32 v72, 0x1300, v1
	v_add_u32_e32 v73, 0x1340, v1
	v_add_u32_e32 v74, 0x1240, v1
	v_cvt_f32_u32_e32 v1, s48
	v_lshlrev_b32_e32 v5, 2, v2
	s_ashr_i32 s3, s2, 31
	s_lshl_b64 s[56:57], s[2:3], 7
	v_rcp_iflag_f32_e32 v1, v1
	s_movk_i32 s2, 0x100
	s_lshl_b64 s[58:59], s[8:9], 1
	v_and_b32_e32 v53, 0x1c0, v5
	v_mul_f32_e32 v1, 0x4f7ffffe, v1
	v_cvt_u32_f32_e32 v2, v1
	v_mov_b32_e32 v5, 0x1000
	v_cmp_gt_u32_e64 s[8:9], s2, v0
	s_sub_i32 s2, 0, s48
	v_lshl_or_b32 v5, v48, 1, v5
	v_mov_b32_e32 v36, 0
	v_mul_lo_u32 v3, s2, v2
	v_mov_b32_e32 v23, 0x12c0
	v_mad_u32_u24 v6, v48, 30, v5
	v_lshlrev_b32_e32 v34, 1, v0
	v_mov_b32_e32 v35, v36
	v_mul_hi_u32 v3, v2, v3
	v_lshl_or_b32 v52, v48, 2, v23
	v_cmp_le_u32_e64 s[10:11], s49, v49
	v_cmp_le_u32_e64 s[12:13], s33, v51
	v_cmp_gt_u32_e64 s[14:15], s33, v51
	v_cmp_le_u32_e64 s[16:17], s33, v50
	v_cmp_gt_u32_e64 s[18:19], s33, v50
	;; [unrolled: 2-line block ×3, first 2 shown]
	v_or_b32_e32 v68, 0x1200, v24
	v_or_b32_e32 v69, 0x1280, v24
	v_cmp_gt_u32_e64 s[24:25], 64, v0
	v_lshl_or_b32 v75, v49, 5, v5
	v_lshl_add_u32 v76, v25, 5, v5
	v_add_u32_e32 v77, v6, v8
	v_add_u32_e32 v78, v6, v9
	s_mov_b32 s68, s58
	s_mov_b32 s69, s59
	;; [unrolled: 1-line block ×4, first 2 shown]
	v_or_b32_e32 v1, 64, v0
	v_add_u32_e32 v79, v2, v3
	s_sub_i32 s70, s66, s63
	s_mov_b32 s71, 0x5040100
	s_mov_b32 s72, 0xff800000
	;; [unrolled: 1-line block ×4, first 2 shown]
	v_mov_b32_e32 v14, 0
	v_mov_b32_e32 v15, v36
	;; [unrolled: 1-line block ×16, first 2 shown]
	v_or_b32_e32 v80, 0x1300, v24
	v_or_b32_e32 v81, 0x1340, v24
	;; [unrolled: 1-line block ×3, first 2 shown]
	v_mov_b32_e32 v83, 0xff800000
	v_lshl_add_u64 v[38:39], s[0:1], 0, v[34:35]
	v_lshl_add_u64 v[40:41], s[26:27], 0, v[34:35]
	s_branch .LBB1_15
.LBB1_14:                               ;   in Loop: Header=BB1_15 Depth=1
	s_or_b64 exec, exec, s[0:1]
	v_mul_f32_e32 v14, v14, v84
	v_mul_f32_e32 v2, v2, v84
	;; [unrolled: 1-line block ×16, first 2 shown]
	v_mfma_f32_16x16x16_bf16 v[14:17], v[18:19], v[20:21], v[14:17]
	s_add_i32 s74, s74, s65
	s_add_i32 s64, s64, 1
	s_sub_i32 s70, s70, s65
	v_mfma_f32_16x16x16_bf16 v[2:5], v[18:19], v[42:43], v[2:5]
	s_cmp_gt_i32 s74, s43
	s_barrier
	v_mfma_f32_16x16x16_bf16 v[6:9], v[18:19], v[44:45], v[6:9]
	v_mfma_f32_16x16x16_bf16 v[10:13], v[18:19], v[46:47], v[10:13]
	s_cbranch_scc1 .LBB1_157
.LBB1_15:                               ; =>This Loop Header: Depth=1
                                        ;     Child Loop BB1_23 Depth 2
                                        ;     Child Loop BB1_29 Depth 2
	s_sub_i32 s0, s66, s74
	s_min_i32 s75, s0, s65
	v_cmp_le_u32_e64 s[28:29], s75, v48
	v_cmp_gt_u32_e64 s[26:27], s75, v48
	s_mov_b64 s[2:3], 0
                                        ; implicit-def: $vgpr18
	s_and_saveexec_b64 s[0:1], s[26:27]
	s_xor_b64 s[0:1], exec, s[0:1]
	s_cbranch_execnz .LBB1_68
; %bb.16:                               ;   in Loop: Header=BB1_15 Depth=1
	s_andn2_saveexec_b64 s[0:1], s[0:1]
	s_cbranch_execnz .LBB1_77
.LBB1_17:                               ;   in Loop: Header=BB1_15 Depth=1
	s_or_b64 exec, exec, s[0:1]
	s_and_saveexec_b64 s[0:1], s[2:3]
.LBB1_18:                               ;   in Loop: Header=BB1_15 Depth=1
	ds_write_b32 v52, v18
.LBB1_19:                               ;   in Loop: Header=BB1_15 Depth=1
	s_or_b64 exec, exec, s[0:1]
	s_min_u32 s76, s75, 16
	s_lshl_b32 s30, s76, 6
	v_cmp_gt_u32_e32 vcc, s30, v0
	s_waitcnt lgkmcnt(0)
	s_barrier
	s_and_saveexec_b64 s[0:1], vcc
	s_cbranch_execz .LBB1_30
; %bb.20:                               ;   in Loop: Header=BB1_15 Depth=1
	s_mul_i32 s2, s65, s64
	s_add_i32 s2, s63, s2
	s_sub_i32 s2, s66, s2
	s_min_i32 s31, s65, s2
	s_mov_b64 s[2:3], -1
	s_cmp_eq_u32 s31, 1
	v_mov_b32_e32 v18, v0
	s_cbranch_scc1 .LBB1_27
; %bb.21:                               ;   in Loop: Header=BB1_15 Depth=1
	s_min_u32 s2, s31, 16
	s_add_i32 s2, s2, -1
	s_and_b32 s2, s2, 0x3ffffff
	s_add_i32 s3, s2, -1
	s_cmp_lt_u32 s3, 2
	v_mov_b64_e32 v[18:19], v[0:1]
	s_cbranch_scc1 .LBB1_24
; %bb.22:                               ;   in Loop: Header=BB1_15 Depth=1
	s_min_i32 s31, s65, s70
	s_min_u32 s31, s31, 16
	s_add_i32 s31, s31, -1
	s_and_b32 s31, s31, 0x3ffffff
	s_add_i32 s31, s31, -1
	s_lshr_b32 s31, s31, 1
	s_add_i32 s31, s31, 1
	s_and_b32 s31, s31, -2
	v_mov_b64_e32 v[18:19], v[0:1]
.LBB1_23:                               ;   Parent Loop BB1_15 Depth=1
                                        ; =>  This Inner Loop Header: Depth=2
	v_lshrrev_b32_e32 v35, 6, v18
	v_add_u32_e32 v37, 0x80, v18
	v_lshl_add_u32 v44, v35, 2, v23
	v_lshrrev_b32_e32 v37, 6, v37
	ds_read2_b32 v[44:45], v44 offset1:1
	v_lshl_add_u32 v46, v37, 2, v23
	ds_read2_b32 v[46:47], v46 offset1:1
	v_mov_b64_e32 v[20:21], s[60:61]
	v_mov_b64_e32 v[42:43], s[56:57]
	s_waitcnt lgkmcnt(1)
	v_ashrrev_i32_e32 v88, 31, v44
	v_ashrrev_i32_e32 v89, 31, v45
	v_mad_u64_u32 v[84:85], s[34:35], s68, v45, v[20:21]
	v_mul_lo_u32 v45, s69, v45
	v_mad_u64_u32 v[86:87], s[34:35], s58, v44, v[42:43]
	v_mul_lo_u32 v44, s59, v44
	v_mul_lo_u32 v89, s68, v89
	;; [unrolled: 1-line block ×3, first 2 shown]
	s_waitcnt lgkmcnt(0)
	v_ashrrev_i32_e32 v90, 31, v46
	v_ashrrev_i32_e32 v91, 31, v47
	v_mad_u64_u32 v[20:21], s[34:35], s68, v47, v[20:21]
	v_mul_lo_u32 v92, s69, v47
	v_mad_u64_u32 v[42:43], s[34:35], s58, v46, v[42:43]
	v_mul_lo_u32 v93, s59, v46
	v_add3_u32 v85, v45, v85, v89
	v_add3_u32 v87, v44, v87, v88
	v_mul_lo_u32 v88, s68, v91
	v_mul_lo_u32 v89, s58, v90
	v_lshl_add_u64 v[44:45], v[38:39], 0, v[86:87]
	v_lshl_add_u64 v[46:47], v[38:39], 0, v[84:85]
	;; [unrolled: 1-line block ×4, first 2 shown]
	v_add3_u32 v21, v92, v21, v88
	v_add3_u32 v43, v93, v43, v89
	global_load_ushort v88, v[44:45], off
	global_load_ushort v89, v[46:47], off
	s_nop 0
	global_load_ushort v86, v[86:87], off
	s_nop 0
	global_load_ushort v84, v[84:85], off
	v_lshl_add_u64 v[44:45], v[38:39], 0, v[42:43]
	v_lshl_add_u64 v[46:47], v[38:39], 0, v[20:21]
	;; [unrolled: 1-line block ×4, first 2 shown]
	global_load_ushort v42, v[42:43], off
	s_nop 0
	global_load_ushort v20, v[20:21], off
	s_nop 0
	global_load_ushort v21, v[44:45], off
	global_load_ushort v43, v[46:47], off
	v_lshlrev_b32_e32 v44, 1, v19
	s_add_i32 s31, s31, -2
	v_and_b32_e32 v46, 0xffffff80, v44
	v_add_u32_e32 v44, 0x100, v44
	v_add_u32_e32 v19, 0x100, v19
	v_add_u32_e32 v18, 0x100, v18
	v_lshl_add_u32 v45, v35, 7, v34
	s_cmp_lg_u32 s31, 0
	v_lshl_add_u32 v47, v37, 7, v34
	v_and_b32_e32 v44, 0xffffff80, v44
	v_lshl_add_u32 v35, v35, 1, v58
	v_add_u32_e32 v46, v34, v46
	v_lshl_add_u32 v37, v37, 1, v58
	v_add_u32_e32 v44, v34, v44
	s_waitcnt vmcnt(4)
	v_perm_b32 v84, v84, v86, s71
	ds_write_b16 v45, v88
	ds_write_b16 v46, v89
	ds_write_b32 v35, v84
	s_waitcnt vmcnt(2)
	v_perm_b32 v20, v20, v42, s71
	s_waitcnt vmcnt(1)
	ds_write_b16 v47, v21
	s_waitcnt vmcnt(0)
	ds_write_b16 v44, v43
	ds_write_b32 v37, v20
	s_cbranch_scc1 .LBB1_23
.LBB1_24:                               ;   in Loop: Header=BB1_15 Depth=1
	s_bitcmp1_b32 s3, 1
	s_cbranch_scc1 .LBB1_26
; %bb.25:                               ;   in Loop: Header=BB1_15 Depth=1
	v_lshrrev_b32_e32 v18, 6, v18
	v_lshl_add_u32 v20, v18, 2, v23
	ds_read2_b32 v[20:21], v20 offset1:1
	v_mov_b32_e32 v42, s60
	v_mov_b32_e32 v43, s61
	;; [unrolled: 1-line block ×4, first 2 shown]
	s_waitcnt lgkmcnt(0)
	v_ashrrev_i32_e32 v37, 31, v21
	v_ashrrev_i32_e32 v35, 31, v20
	v_mul_lo_u32 v37, s68, v37
	v_mad_u64_u32 v[42:43], s[34:35], s68, v21, v[42:43]
	v_mul_lo_u32 v21, s69, v21
	v_add3_u32 v43, v21, v43, v37
	v_mul_lo_u32 v21, s58, v35
	v_mad_u64_u32 v[44:45], s[34:35], s58, v20, v[44:45]
	v_mul_lo_u32 v20, s59, v20
	v_add3_u32 v45, v20, v45, v21
	v_lshl_add_u64 v[20:21], v[38:39], 0, v[44:45]
	v_lshl_add_u64 v[44:45], v[40:41], 0, v[44:45]
	;; [unrolled: 1-line block ×4, first 2 shown]
	global_load_ushort v35, v[44:45], off
	global_load_ushort v37, v[42:43], off
	s_nop 0
	global_load_ushort v20, v[20:21], off
	s_nop 0
	global_load_ushort v21, v[46:47], off
	v_lshlrev_b32_e32 v19, 1, v19
	v_lshl_add_u32 v42, v18, 7, v34
	v_and_b32_e32 v19, 0xffffff80, v19
	v_lshl_add_u32 v18, v18, 1, v58
	v_add_u32_e32 v19, v34, v19
	s_waitcnt vmcnt(1)
	ds_write_b16 v42, v20
	s_waitcnt vmcnt(0)
	ds_write_b16 v19, v21
	v_perm_b32 v35, v37, v35, s71
	ds_write_b32 v18, v35
.LBB1_26:                               ;   in Loop: Header=BB1_15 Depth=1
	s_add_i32 s2, s2, 1
	s_and_b32 s3, s2, 0x7fffffe
	s_cmp_lg_u32 s2, s3
	v_lshl_or_b32 v18, s3, 6, v0
	s_cselect_b64 s[2:3], -1, 0
.LBB1_27:                               ;   in Loop: Header=BB1_15 Depth=1
	s_and_b64 vcc, exec, s[2:3]
	s_cbranch_vccz .LBB1_30
; %bb.28:                               ;   in Loop: Header=BB1_15 Depth=1
	v_lshrrev_b32_e32 v21, 6, v18
	v_lshl_add_u32 v19, v21, 7, v34
	v_lshl_add_u32 v20, v21, 1, v58
	;; [unrolled: 1-line block ×3, first 2 shown]
	s_mov_b64 s[2:3], 0
.LBB1_29:                               ;   Parent Loop BB1_15 Depth=1
                                        ; =>  This Inner Loop Header: Depth=2
	ds_read_b32 v35, v21
	v_mov_b64_e32 v[42:43], s[56:57]
	v_add_u32_e32 v18, 64, v18
	v_cmp_le_u32_e32 vcc, s30, v18
	v_add_u32_e32 v21, 4, v21
	s_waitcnt lgkmcnt(0)
	v_ashrrev_i32_e32 v37, 31, v35
	v_mad_u64_u32 v[42:43], s[34:35], s58, v35, v[42:43]
	v_mul_lo_u32 v35, s59, v35
	v_mul_lo_u32 v37, s58, v37
	v_add3_u32 v43, v35, v43, v37
	v_lshl_add_u64 v[44:45], v[38:39], 0, v[42:43]
	v_lshl_add_u64 v[42:43], v[40:41], 0, v[42:43]
	global_load_ushort v35, v[44:45], off
	global_load_ushort v37, v[42:43], off
	s_or_b64 s[2:3], vcc, s[2:3]
	s_waitcnt vmcnt(1)
	ds_write_b16 v19, v35
	s_waitcnt vmcnt(0)
	ds_write_b16 v20, v37
	v_add_u32_e32 v19, 0x80, v19
	v_add_u32_e32 v20, 2, v20
	s_andn2_b64 exec, exec, s[2:3]
	s_cbranch_execnz .LBB1_29
.LBB1_30:                               ;   in Loop: Header=BB1_15 Depth=1
	s_or_b64 exec, exec, s[0:1]
	v_mov_b32_e32 v42, 0
	v_mov_b32_e32 v18, 0
	;; [unrolled: 1-line block ×3, first 2 shown]
	s_waitcnt lgkmcnt(0)
	s_barrier
	s_and_saveexec_b64 s[0:1], s[26:27]
	s_cbranch_execz .LBB1_34
; %bb.31:                               ;   in Loop: Header=BB1_15 Depth=1
	ds_read_u16 v19, v59 offset:4
	ds_read_b32 v18, v59
	s_waitcnt lgkmcnt(1)
	v_and_b32_e32 v19, 0xffff, v19
	s_and_saveexec_b64 s[2:3], s[8:9]
	s_cbranch_execz .LBB1_33
; %bb.32:                               ;   in Loop: Header=BB1_15 Depth=1
	ds_read_u16 v20, v60
	s_waitcnt lgkmcnt(0)
	v_perm_b32 v19, v20, v19, s71
.LBB1_33:                               ;   in Loop: Header=BB1_15 Depth=1
	s_or_b64 exec, exec, s[2:3]
.LBB1_34:                               ;   in Loop: Header=BB1_15 Depth=1
	s_or_b64 exec, exec, s[0:1]
	s_waitcnt lgkmcnt(0)
	v_mfma_f32_16x16x16_bf16 v[18:21], v[28:29], v[18:19], 0
	v_mov_b32_e32 v43, 0
	s_and_saveexec_b64 s[0:1], s[26:27]
	s_cbranch_execz .LBB1_38
; %bb.35:                               ;   in Loop: Header=BB1_15 Depth=1
	ds_read_u16 v35, v59 offset:36
	ds_read_b32 v42, v59 offset:32
	s_waitcnt lgkmcnt(1)
	v_and_b32_e32 v43, 0xffff, v35
	s_and_saveexec_b64 s[2:3], s[8:9]
	s_cbranch_execz .LBB1_37
; %bb.36:                               ;   in Loop: Header=BB1_15 Depth=1
	ds_read_u16 v35, v61
	s_waitcnt lgkmcnt(0)
	v_perm_b32 v43, v35, v43, s71
.LBB1_37:                               ;   in Loop: Header=BB1_15 Depth=1
	s_or_b64 exec, exec, s[2:3]
.LBB1_38:                               ;   in Loop: Header=BB1_15 Depth=1
	s_or_b64 exec, exec, s[0:1]
	s_waitcnt lgkmcnt(0)
	v_mfma_f32_16x16x16_bf16 v[18:21], v[26:27], v[42:43], v[18:21]
	v_mov_b32_e32 v44, 0
	v_mov_b32_e32 v46, 0
	;; [unrolled: 1-line block ×3, first 2 shown]
	s_and_saveexec_b64 s[0:1], s[26:27]
	s_cbranch_execz .LBB1_42
; %bb.39:                               ;   in Loop: Header=BB1_15 Depth=1
	ds_read_u16 v35, v59 offset:68
	ds_read_b32 v46, v59 offset:64
	s_waitcnt lgkmcnt(1)
	v_and_b32_e32 v47, 0xffff, v35
	s_and_saveexec_b64 s[2:3], s[8:9]
	s_cbranch_execz .LBB1_41
; %bb.40:                               ;   in Loop: Header=BB1_15 Depth=1
	ds_read_u16 v35, v62
	s_waitcnt lgkmcnt(0)
	v_perm_b32 v47, v35, v47, s71
.LBB1_41:                               ;   in Loop: Header=BB1_15 Depth=1
	s_or_b64 exec, exec, s[2:3]
.LBB1_42:                               ;   in Loop: Header=BB1_15 Depth=1
	s_or_b64 exec, exec, s[0:1]
	s_waitcnt lgkmcnt(0)
	v_mfma_f32_16x16x16_bf16 v[18:21], v[32:33], v[46:47], v[18:21]
	v_mov_b32_e32 v45, 0
	s_and_saveexec_b64 s[0:1], s[26:27]
	s_cbranch_execz .LBB1_46
; %bb.43:                               ;   in Loop: Header=BB1_15 Depth=1
	ds_read_u16 v35, v59 offset:100
	ds_read_b32 v44, v59 offset:96
	s_waitcnt lgkmcnt(1)
	v_and_b32_e32 v45, 0xffff, v35
	s_and_saveexec_b64 s[2:3], s[8:9]
	s_cbranch_execz .LBB1_45
; %bb.44:                               ;   in Loop: Header=BB1_15 Depth=1
	ds_read_u16 v35, v63
	s_waitcnt lgkmcnt(0)
	v_perm_b32 v45, v35, v45, s71
.LBB1_45:                               ;   in Loop: Header=BB1_15 Depth=1
	s_or_b64 exec, exec, s[2:3]
.LBB1_46:                               ;   in Loop: Header=BB1_15 Depth=1
	s_or_b64 exec, exec, s[0:1]
	s_waitcnt lgkmcnt(0)
	v_mfma_f32_16x16x16_bf16 v[42:45], v[30:31], v[44:45], v[18:21]
	s_or_b64 s[34:35], s[28:29], s[12:13]
	s_or_b64 s[30:31], s[28:29], s[10:11]
	;; [unrolled: 1-line block ×4, first 2 shown]
	s_nop 3
	v_cndmask_b32_e64 v20, v43, v83, s[34:35]
	v_cndmask_b32_e64 v37, v42, v83, s[30:31]
	ds_bpermute_b32 v21, v64, v20
	ds_bpermute_b32 v18, v64, v37
	v_max_f32_e32 v35, v20, v20
	v_max_f32_e32 v19, v37, v37
	s_waitcnt lgkmcnt(1)
	v_max_f32_e32 v21, v21, v21
	s_waitcnt lgkmcnt(0)
	v_max_f32_e32 v18, v18, v18
	v_max_f32_e32 v35, v35, v21
	;; [unrolled: 1-line block ×3, first 2 shown]
	ds_bpermute_b32 v42, v65, v35
	ds_bpermute_b32 v19, v65, v18
	v_cndmask_b32_e64 v21, v44, v83, s[36:37]
	ds_bpermute_b32 v44, v64, v21
	s_waitcnt lgkmcnt(2)
	v_max_f32_e32 v42, v42, v42
	s_waitcnt lgkmcnt(1)
	v_max_f32_e32 v19, v19, v19
	v_max_f32_e32 v42, v35, v42
	;; [unrolled: 1-line block ×3, first 2 shown]
	ds_bpermute_b32 v43, v66, v42
	ds_bpermute_b32 v19, v66, v18
	v_cndmask_b32_e64 v35, v45, v83, s[28:29]
	ds_bpermute_b32 v45, v64, v35
	s_waitcnt lgkmcnt(3)
	v_max_f32_e32 v44, v44, v44
	s_waitcnt lgkmcnt(2)
	v_max_f32_e32 v43, v43, v43
	;; [unrolled: 2-line block ×3, first 2 shown]
	v_max_f32_e32 v42, v42, v43
	v_max_f32_e32 v43, v21, v21
	;; [unrolled: 1-line block ×4, first 2 shown]
	ds_bpermute_b32 v19, v67, v18
	ds_bpermute_b32 v44, v65, v43
	v_max_f32_e32 v46, v35, v35
	s_waitcnt lgkmcnt(2)
	v_max_f32_e32 v45, v45, v45
	v_max_f32_e32 v45, v46, v45
	ds_bpermute_b32 v46, v65, v45
	s_waitcnt lgkmcnt(2)
	v_max_f32_e32 v19, v19, v19
	s_waitcnt lgkmcnt(1)
	v_max_f32_e32 v44, v44, v44
	v_max_f32_e32 v18, v18, v19
	ds_bpermute_b32 v19, v67, v42
	v_max_f32_e32 v43, v43, v44
	ds_bpermute_b32 v44, v66, v43
	s_waitcnt lgkmcnt(2)
	v_max_f32_e32 v46, v46, v46
	v_max_f32_e32 v45, v45, v46
	ds_bpermute_b32 v46, v66, v45
	s_waitcnt lgkmcnt(2)
	v_max_f32_e32 v19, v19, v19
	v_max_f32_e32 v19, v42, v19
	s_waitcnt lgkmcnt(1)
	v_max_f32_e32 v42, v44, v44
	v_max_f32_e32 v42, v43, v42
	ds_bpermute_b32 v44, v67, v42
	s_waitcnt lgkmcnt(1)
	v_max_f32_e32 v43, v46, v46
	v_max_f32_e32 v45, v45, v43
	ds_bpermute_b32 v46, v67, v45
	ds_bpermute_b32 v43, v53, v19
	s_waitcnt lgkmcnt(2)
	v_max_f32_e32 v19, v44, v44
	v_max_f32_e32 v19, v42, v19
	ds_bpermute_b32 v42, v53, v19
	s_waitcnt lgkmcnt(2)
	v_max_f32_e32 v19, v46, v46
	v_max_f32_e32 v19, v45, v19
	ds_bpermute_b32 v18, v53, v18
	ds_bpermute_b32 v19, v53, v19
	s_and_saveexec_b64 s[0:1], s[6:7]
	s_cbranch_execz .LBB1_49
; %bb.47:                               ;   in Loop: Header=BB1_15 Depth=1
	ds_read_b96 v[44:46], v69
	s_waitcnt lgkmcnt(2)
	v_max_f32_e32 v18, v18, v18
	v_max_f32_e32 v43, v43, v43
	s_waitcnt lgkmcnt(0)
	v_max_f32_e32 v47, v44, v44
	v_max_f32_e32 v85, v45, v45
	v_max_f32_e32 v84, v47, v18
	v_max_f32_e32 v18, v42, v42
	v_max_f32_e32 v42, v46, v46
	v_max_f32_e32 v85, v85, v43
	v_max_f32_e32 v86, v42, v18
	ds_write_b96 v68, v[44:46]
	ds_write_b96 v69, v[84:86]
	s_and_b64 exec, exec, s[24:25]
	s_cbranch_execz .LBB1_49
; %bb.48:                               ;   in Loop: Header=BB1_15 Depth=1
	ds_read_b32 v18, v71
	v_max_f32_e32 v19, v19, v19
	s_waitcnt lgkmcnt(0)
	ds_write_b32 v70, v18
	v_max_f32_e32 v18, v18, v18
	v_max_f32_e32 v18, v18, v19
	ds_write_b32 v71, v18
.LBB1_49:                               ;   in Loop: Header=BB1_15 Depth=1
	s_or_b64 exec, exec, s[0:1]
	s_waitcnt lgkmcnt(1)
	v_mov_b32_e32 v18, 0
	s_waitcnt lgkmcnt(0)
	v_mov_b32_e32 v19, 0
	s_barrier
	s_and_saveexec_b64 s[0:1], s[26:27]
	s_cbranch_execz .LBB1_51
; %bb.50:                               ;   in Loop: Header=BB1_15 Depth=1
	ds_read_b32 v19, v69
	s_waitcnt lgkmcnt(0)
	v_sub_f32_e32 v37, v37, v19
	v_mul_f32_e32 v37, 0x3fb8aa3b, v37
	v_exp_f32_e32 v37, v37
	v_cmp_lg_f32_e32 vcc, s72, v19
	s_and_b64 vcc, s[4:5], vcc
	s_nop 0
	v_cndmask_b32_e32 v19, 0, v37, vcc
.LBB1_51:                               ;   in Loop: Header=BB1_15 Depth=1
	s_or_b64 exec, exec, s[0:1]
	ds_bpermute_b32 v37, v64, v19
	s_waitcnt lgkmcnt(0)
	v_add_f32_e32 v37, v19, v37
	ds_bpermute_b32 v42, v65, v37
	s_waitcnt lgkmcnt(0)
	v_add_f32_e32 v37, v37, v42
	;; [unrolled: 3-line block ×4, first 2 shown]
	ds_bpermute_b32 v43, v53, v37
	s_and_saveexec_b64 s[0:1], s[26:27]
	s_cbranch_execz .LBB1_53
; %bb.52:                               ;   in Loop: Header=BB1_15 Depth=1
	ds_read_b32 v18, v69 offset:4
	s_waitcnt lgkmcnt(0)
	v_sub_f32_e32 v20, v20, v18
	v_mul_f32_e32 v20, 0x3fb8aa3b, v20
	v_exp_f32_e32 v20, v20
	v_cmp_lg_f32_e32 vcc, s72, v18
	s_and_b64 vcc, s[14:15], vcc
	s_nop 0
	v_cndmask_b32_e32 v18, 0, v20, vcc
.LBB1_53:                               ;   in Loop: Header=BB1_15 Depth=1
	s_or_b64 exec, exec, s[0:1]
	ds_bpermute_b32 v20, v64, v18
	s_waitcnt lgkmcnt(0)
	v_add_f32_e32 v20, v18, v20
	ds_bpermute_b32 v37, v65, v20
	s_waitcnt lgkmcnt(0)
	v_add_f32_e32 v20, v20, v37
	;; [unrolled: 3-line block ×4, first 2 shown]
	ds_bpermute_b32 v42, v53, v20
	v_mov_b32_e32 v20, 0
	s_and_saveexec_b64 s[0:1], s[26:27]
	s_cbranch_execz .LBB1_55
; %bb.54:                               ;   in Loop: Header=BB1_15 Depth=1
	ds_read_b32 v20, v69 offset:8
	s_waitcnt lgkmcnt(0)
	v_sub_f32_e32 v21, v21, v20
	v_mul_f32_e32 v21, 0x3fb8aa3b, v21
	v_exp_f32_e32 v21, v21
	v_cmp_lg_f32_e32 vcc, s72, v20
	s_and_b64 vcc, s[18:19], vcc
	s_nop 0
	v_cndmask_b32_e32 v20, 0, v21, vcc
.LBB1_55:                               ;   in Loop: Header=BB1_15 Depth=1
	s_or_b64 exec, exec, s[0:1]
	ds_bpermute_b32 v21, v64, v20
	v_mov_b32_e32 v44, 0xff800000
	s_waitcnt lgkmcnt(0)
	v_add_f32_e32 v21, v20, v21
	ds_bpermute_b32 v37, v65, v21
	s_waitcnt lgkmcnt(0)
	v_add_f32_e32 v21, v21, v37
	ds_bpermute_b32 v37, v66, v21
	;; [unrolled: 3-line block ×4, first 2 shown]
	s_and_saveexec_b64 s[0:1], s[24:25]
; %bb.56:                               ;   in Loop: Header=BB1_15 Depth=1
	ds_read_b32 v44, v71
; %bb.57:                               ;   in Loop: Header=BB1_15 Depth=1
	s_or_b64 exec, exec, s[0:1]
	v_mov_b32_e32 v21, 0
	s_and_saveexec_b64 s[0:1], s[26:27]
	s_cbranch_execz .LBB1_59
; %bb.58:                               ;   in Loop: Header=BB1_15 Depth=1
	s_waitcnt lgkmcnt(0)
	v_sub_f32_e32 v21, v35, v44
	v_mul_f32_e32 v21, 0x3fb8aa3b, v21
	v_exp_f32_e32 v21, v21
	v_cmp_lg_f32_e32 vcc, s72, v44
	s_and_b64 vcc, s[22:23], vcc
	s_nop 0
	v_cndmask_b32_e32 v21, 0, v21, vcc
.LBB1_59:                               ;   in Loop: Header=BB1_15 Depth=1
	s_or_b64 exec, exec, s[0:1]
	ds_bpermute_b32 v35, v64, v21
	s_waitcnt lgkmcnt(0)
	v_add_f32_e32 v35, v21, v35
	ds_bpermute_b32 v44, v65, v35
	s_waitcnt lgkmcnt(0)
	v_add_f32_e32 v35, v35, v44
	;; [unrolled: 3-line block ×4, first 2 shown]
	ds_bpermute_b32 v35, v53, v35
	s_and_saveexec_b64 s[2:3], s[6:7]
	s_cbranch_execz .LBB1_96
; %bb.60:                               ;   in Loop: Header=BB1_15 Depth=1
	s_and_saveexec_b64 s[0:1], s[10:11]
	s_xor_b64 s[0:1], exec, s[0:1]
	s_cbranch_execnz .LBB1_78
; %bb.61:                               ;   in Loop: Header=BB1_15 Depth=1
	s_andn2_saveexec_b64 s[26:27], s[0:1]
	s_cbranch_execnz .LBB1_79
.LBB1_62:                               ;   in Loop: Header=BB1_15 Depth=1
	s_or_b64 exec, exec, s[26:27]
	s_and_saveexec_b64 s[0:1], s[12:13]
	s_xor_b64 s[0:1], exec, s[0:1]
	s_cbranch_execnz .LBB1_82
.LBB1_63:                               ;   in Loop: Header=BB1_15 Depth=1
	s_andn2_saveexec_b64 s[26:27], s[0:1]
	s_cbranch_execnz .LBB1_83
.LBB1_64:                               ;   in Loop: Header=BB1_15 Depth=1
	s_or_b64 exec, exec, s[26:27]
	s_and_saveexec_b64 s[0:1], s[16:17]
	s_xor_b64 s[0:1], exec, s[0:1]
	s_cbranch_execnz .LBB1_86
.LBB1_65:                               ;   in Loop: Header=BB1_15 Depth=1
	s_andn2_saveexec_b64 s[26:27], s[0:1]
	s_cbranch_execnz .LBB1_87
.LBB1_66:                               ;   in Loop: Header=BB1_15 Depth=1
	s_or_b64 exec, exec, s[26:27]
	s_and_saveexec_b64 s[0:1], s[20:21]
	s_xor_b64 s[0:1], exec, s[0:1]
	s_cbranch_execnz .LBB1_90
.LBB1_67:                               ;   in Loop: Header=BB1_15 Depth=1
	s_andn2_saveexec_b64 s[0:1], s[0:1]
	s_cbranch_execnz .LBB1_93
	s_branch .LBB1_96
.LBB1_68:                               ;   in Loop: Header=BB1_15 Depth=1
	s_andn2_b64 vcc, exec, s[52:53]
	v_add_u32_e32 v18, s74, v48
	s_cbranch_vccnz .LBB1_76
; %bb.69:                               ;   in Loop: Header=BB1_15 Depth=1
	s_mov_b64 s[2:3], -1
	s_and_b64 vcc, exec, s[54:55]
                                        ; implicit-def: $vgpr19
	s_cbranch_vccz .LBB1_73
; %bb.70:                               ;   in Loop: Header=BB1_15 Depth=1
	v_cmp_le_i32_e32 vcc, s62, v18
	v_mov_b32_e32 v19, v18
	s_and_saveexec_b64 s[2:3], vcc
	s_cbranch_execz .LBB1_72
; %bb.71:                               ;   in Loop: Header=BB1_15 Depth=1
	v_sub_u32_e32 v20, 0, v18
	v_max_i32_e32 v20, v18, v20
	v_mul_hi_u32 v21, v20, v79
	v_mul_lo_u32 v21, v21, s48
	v_sub_u32_e32 v20, v20, v21
	v_subrev_u32_e32 v21, s48, v20
	v_cmp_le_u32_e32 vcc, s48, v20
	v_ashrrev_i32_e32 v19, 31, v18
	s_nop 0
	v_cndmask_b32_e32 v20, v20, v21, vcc
	v_subrev_u32_e32 v21, s48, v20
	v_cmp_le_u32_e32 vcc, s48, v20
	s_nop 1
	v_cndmask_b32_e32 v20, v20, v21, vcc
	v_xor_b32_e32 v20, v20, v19
	v_sub_u32_e32 v19, v20, v19
.LBB1_72:                               ;   in Loop: Header=BB1_15 Depth=1
	s_or_b64 exec, exec, s[2:3]
	s_mov_b64 s[2:3], 0
.LBB1_73:                               ;   in Loop: Header=BB1_15 Depth=1
	s_andn2_b64 vcc, exec, s[2:3]
	s_cbranch_vccnz .LBB1_75
; %bb.74:                               ;   in Loop: Header=BB1_15 Depth=1
	v_and_b32_e32 v19, s67, v18
.LBB1_75:                               ;   in Loop: Header=BB1_15 Depth=1
	v_mov_b32_e32 v18, v19
.LBB1_76:                               ;   in Loop: Header=BB1_15 Depth=1
	s_and_b64 s[2:3], s[40:41], exec
	s_andn2_saveexec_b64 s[0:1], s[0:1]
	s_cbranch_execz .LBB1_17
.LBB1_77:                               ;   in Loop: Header=BB1_15 Depth=1
	s_andn2_b64 s[2:3], s[2:3], exec
	s_and_b64 s[30:31], s[40:41], exec
	v_mov_b32_e32 v18, 0
	s_or_b64 s[2:3], s[2:3], s[30:31]
	s_or_b64 exec, exec, s[0:1]
	s_and_saveexec_b64 s[0:1], s[2:3]
	s_cbranch_execnz .LBB1_18
	s_branch .LBB1_19
.LBB1_78:                               ;   in Loop: Header=BB1_15 Depth=1
	ds_write_b32 v81, v36
	ds_write_b32 v80, v36
                                        ; implicit-def: $vgpr43
	s_andn2_saveexec_b64 s[26:27], s[0:1]
	s_cbranch_execz .LBB1_62
.LBB1_79:                               ;   in Loop: Header=BB1_15 Depth=1
	ds_read_b32 v46, v68
	ds_read_b32 v44, v82
	v_mov_b32_e32 v45, 0
	s_waitcnt lgkmcnt(1)
	v_cmp_neq_f32_e32 vcc, s72, v46
	s_and_saveexec_b64 s[0:1], vcc
	s_cbranch_execz .LBB1_81
; %bb.80:                               ;   in Loop: Header=BB1_15 Depth=1
	ds_read_b32 v45, v69
	s_waitcnt lgkmcnt(0)
	v_sub_f32_e32 v45, v46, v45
	v_mul_f32_e32 v45, 0x3fb8aa3b, v45
	v_exp_f32_e32 v45, v45
.LBB1_81:                               ;   in Loop: Header=BB1_15 Depth=1
	s_or_b64 exec, exec, s[0:1]
	s_waitcnt lgkmcnt(0)
	v_mul_f32_e32 v46, v44, v45
	v_fmac_f32_e32 v43, v44, v45
	v_div_scale_f32 v44, s[0:1], v43, v43, v46
	v_rcp_f32_e32 v45, v44
	s_nop 0
	v_fma_f32 v47, -v44, v45, 1.0
	v_fmac_f32_e32 v45, v47, v45
	v_div_scale_f32 v47, vcc, v46, v43, v46
	v_mul_f32_e32 v84, v47, v45
	v_fma_f32 v85, -v44, v84, v47
	v_fmac_f32_e32 v84, v85, v45
	v_fma_f32 v44, -v44, v84, v47
	v_div_fmas_f32 v44, v44, v45, v84
	v_div_scale_f32 v45, s[0:1], v43, v43, 1.0
	v_rcp_f32_e32 v47, v45
	v_div_fixup_f32 v44, v44, v43, v46
	v_cmp_lt_f32_e64 s[0:1], 0, v43
	v_fma_f32 v46, -v45, v47, 1.0
	v_fmac_f32_e32 v47, v46, v47
	v_div_scale_f32 v46, vcc, 1.0, v43, 1.0
	v_mul_f32_e32 v84, v46, v47
	v_fma_f32 v85, -v45, v84, v46
	v_fmac_f32_e32 v84, v85, v47
	v_fma_f32 v45, -v45, v84, v46
	v_div_fmas_f32 v45, v45, v47, v84
	v_cndmask_b32_e64 v44, 0, v44, s[0:1]
	v_div_fixup_f32 v45, v45, v43, 1.0
	v_cndmask_b32_e64 v45, 0, v45, s[0:1]
	ds_write_b32 v81, v44
	ds_write_b32 v80, v45
	;; [unrolled: 1-line block ×3, first 2 shown]
	s_or_b64 exec, exec, s[26:27]
	s_and_saveexec_b64 s[0:1], s[12:13]
	s_xor_b64 s[0:1], exec, s[0:1]
	s_cbranch_execz .LBB1_63
.LBB1_82:                               ;   in Loop: Header=BB1_15 Depth=1
	ds_write_b32 v81, v36 offset:4
	ds_write_b32 v80, v36 offset:4
                                        ; implicit-def: $vgpr42
	s_andn2_saveexec_b64 s[26:27], s[0:1]
	s_cbranch_execz .LBB1_64
.LBB1_83:                               ;   in Loop: Header=BB1_15 Depth=1
	ds_read_b32 v45, v68 offset:4
	ds_read_b32 v43, v82 offset:4
	v_mov_b32_e32 v44, 0
	s_waitcnt lgkmcnt(1)
	v_cmp_neq_f32_e32 vcc, s72, v45
	s_and_saveexec_b64 s[0:1], vcc
	s_cbranch_execz .LBB1_85
; %bb.84:                               ;   in Loop: Header=BB1_15 Depth=1
	ds_read_b32 v44, v69 offset:4
	s_waitcnt lgkmcnt(0)
	v_sub_f32_e32 v44, v45, v44
	v_mul_f32_e32 v44, 0x3fb8aa3b, v44
	v_exp_f32_e32 v44, v44
.LBB1_85:                               ;   in Loop: Header=BB1_15 Depth=1
	s_or_b64 exec, exec, s[0:1]
	s_waitcnt lgkmcnt(0)
	v_mul_f32_e32 v45, v43, v44
	v_fmac_f32_e32 v42, v43, v44
	v_div_scale_f32 v43, s[0:1], v42, v42, v45
	v_rcp_f32_e32 v44, v43
	s_nop 0
	v_fma_f32 v46, -v43, v44, 1.0
	v_fmac_f32_e32 v44, v46, v44
	v_div_scale_f32 v46, vcc, v45, v42, v45
	v_mul_f32_e32 v47, v46, v44
	v_fma_f32 v84, -v43, v47, v46
	v_fmac_f32_e32 v47, v84, v44
	v_fma_f32 v43, -v43, v47, v46
	v_div_fmas_f32 v43, v43, v44, v47
	v_div_scale_f32 v44, s[0:1], v42, v42, 1.0
	v_rcp_f32_e32 v46, v44
	v_div_fixup_f32 v43, v43, v42, v45
	v_cmp_lt_f32_e64 s[0:1], 0, v42
	v_fma_f32 v45, -v44, v46, 1.0
	v_fmac_f32_e32 v46, v45, v46
	v_div_scale_f32 v45, vcc, 1.0, v42, 1.0
	v_mul_f32_e32 v47, v45, v46
	v_fma_f32 v84, -v44, v47, v45
	v_fmac_f32_e32 v47, v84, v46
	v_fma_f32 v44, -v44, v47, v45
	v_div_fmas_f32 v44, v44, v46, v47
	v_cndmask_b32_e64 v43, 0, v43, s[0:1]
	v_div_fixup_f32 v44, v44, v42, 1.0
	v_cndmask_b32_e64 v44, 0, v44, s[0:1]
	ds_write_b32 v81, v43 offset:4
	ds_write_b32 v80, v44 offset:4
	ds_write_b32 v82, v42 offset:4
	s_or_b64 exec, exec, s[26:27]
	s_and_saveexec_b64 s[0:1], s[16:17]
	s_xor_b64 s[0:1], exec, s[0:1]
	s_cbranch_execz .LBB1_65
.LBB1_86:                               ;   in Loop: Header=BB1_15 Depth=1
	ds_write_b32 v81, v36 offset:8
	ds_write_b32 v80, v36 offset:8
                                        ; implicit-def: $vgpr37
	s_andn2_saveexec_b64 s[26:27], s[0:1]
	s_cbranch_execz .LBB1_66
.LBB1_87:                               ;   in Loop: Header=BB1_15 Depth=1
	ds_read_b32 v44, v68 offset:8
	ds_read_b32 v42, v82 offset:8
	v_mov_b32_e32 v43, 0
	s_waitcnt lgkmcnt(1)
	v_cmp_neq_f32_e32 vcc, s72, v44
	s_and_saveexec_b64 s[0:1], vcc
	s_cbranch_execz .LBB1_89
; %bb.88:                               ;   in Loop: Header=BB1_15 Depth=1
	ds_read_b32 v43, v69 offset:8
	s_waitcnt lgkmcnt(0)
	v_sub_f32_e32 v43, v44, v43
	v_mul_f32_e32 v43, 0x3fb8aa3b, v43
	v_exp_f32_e32 v43, v43
.LBB1_89:                               ;   in Loop: Header=BB1_15 Depth=1
	s_or_b64 exec, exec, s[0:1]
	s_waitcnt lgkmcnt(0)
	v_mul_f32_e32 v44, v42, v43
	v_fmac_f32_e32 v37, v42, v43
	v_div_scale_f32 v42, s[0:1], v37, v37, v44
	v_rcp_f32_e32 v43, v42
	s_nop 0
	v_fma_f32 v45, -v42, v43, 1.0
	v_fmac_f32_e32 v43, v45, v43
	v_div_scale_f32 v45, vcc, v44, v37, v44
	v_mul_f32_e32 v46, v45, v43
	v_fma_f32 v47, -v42, v46, v45
	v_fmac_f32_e32 v46, v47, v43
	v_fma_f32 v42, -v42, v46, v45
	v_div_fmas_f32 v42, v42, v43, v46
	v_div_scale_f32 v43, s[0:1], v37, v37, 1.0
	v_rcp_f32_e32 v45, v43
	v_div_fixup_f32 v42, v42, v37, v44
	v_cmp_lt_f32_e64 s[0:1], 0, v37
	v_fma_f32 v44, -v43, v45, 1.0
	v_fmac_f32_e32 v45, v44, v45
	v_div_scale_f32 v44, vcc, 1.0, v37, 1.0
	v_mul_f32_e32 v46, v44, v45
	v_fma_f32 v47, -v43, v46, v44
	v_fmac_f32_e32 v46, v47, v45
	v_fma_f32 v43, -v43, v46, v44
	v_div_fmas_f32 v43, v43, v45, v46
	v_cndmask_b32_e64 v42, 0, v42, s[0:1]
	v_div_fixup_f32 v43, v43, v37, 1.0
	v_cndmask_b32_e64 v43, 0, v43, s[0:1]
	ds_write_b32 v81, v42 offset:8
	ds_write_b32 v80, v43 offset:8
	;; [unrolled: 1-line block ×3, first 2 shown]
	s_or_b64 exec, exec, s[26:27]
	s_and_saveexec_b64 s[0:1], s[20:21]
	s_xor_b64 s[0:1], exec, s[0:1]
	s_cbranch_execz .LBB1_67
.LBB1_90:                               ;   in Loop: Header=BB1_15 Depth=1
	s_and_saveexec_b64 s[26:27], s[24:25]
	s_cbranch_execz .LBB1_92
; %bb.91:                               ;   in Loop: Header=BB1_15 Depth=1
	ds_write_b32 v73, v36
	ds_write_b32 v72, v36
.LBB1_92:                               ;   in Loop: Header=BB1_15 Depth=1
	s_or_b64 exec, exec, s[26:27]
                                        ; implicit-def: $vgpr35
	s_andn2_saveexec_b64 s[0:1], s[0:1]
	s_cbranch_execz .LBB1_96
.LBB1_93:                               ;   in Loop: Header=BB1_15 Depth=1
	ds_read_b32 v43, v70
	ds_read_b32 v37, v74
	v_mov_b32_e32 v42, 0
	s_waitcnt lgkmcnt(1)
	v_cmp_neq_f32_e32 vcc, s72, v43
	s_and_saveexec_b64 s[0:1], vcc
	s_cbranch_execz .LBB1_95
; %bb.94:                               ;   in Loop: Header=BB1_15 Depth=1
	ds_read_b32 v42, v71
	s_waitcnt lgkmcnt(0)
	v_sub_f32_e32 v42, v43, v42
	v_mul_f32_e32 v42, 0x3fb8aa3b, v42
	v_exp_f32_e32 v42, v42
.LBB1_95:                               ;   in Loop: Header=BB1_15 Depth=1
	s_or_b64 exec, exec, s[0:1]
	s_waitcnt lgkmcnt(0)
	v_mul_f32_e32 v43, v37, v42
	v_fmac_f32_e32 v35, v37, v42
	v_div_scale_f32 v37, s[0:1], v35, v35, v43
	v_rcp_f32_e32 v42, v37
	s_nop 0
	v_fma_f32 v44, -v37, v42, 1.0
	v_fmac_f32_e32 v42, v44, v42
	v_div_scale_f32 v44, vcc, v43, v35, v43
	v_mul_f32_e32 v45, v44, v42
	v_fma_f32 v46, -v37, v45, v44
	v_fmac_f32_e32 v45, v46, v42
	v_fma_f32 v37, -v37, v45, v44
	v_div_fmas_f32 v37, v37, v42, v45
	v_div_scale_f32 v42, s[0:1], v35, v35, 1.0
	v_rcp_f32_e32 v44, v42
	v_div_fixup_f32 v37, v37, v35, v43
	v_cmp_lt_f32_e64 s[0:1], 0, v35
	v_fma_f32 v43, -v42, v44, 1.0
	v_fmac_f32_e32 v44, v43, v44
	v_div_scale_f32 v43, vcc, 1.0, v35, 1.0
	v_mul_f32_e32 v45, v43, v44
	v_fma_f32 v46, -v42, v45, v43
	v_fmac_f32_e32 v45, v46, v44
	v_fma_f32 v42, -v42, v45, v43
	v_div_fmas_f32 v42, v42, v44, v45
	v_cndmask_b32_e64 v37, 0, v37, s[0:1]
	v_div_fixup_f32 v42, v42, v35, 1.0
	v_cndmask_b32_e64 v42, 0, v42, s[0:1]
	ds_write_b32 v73, v37
	ds_write_b32 v72, v42
	;; [unrolled: 1-line block ×3, first 2 shown]
.LBB1_96:                               ;   in Loop: Header=BB1_15 Depth=1
	s_or_b64 exec, exec, s[2:3]
	s_xor_b64 s[30:31], s[30:31], -1
	s_xor_b64 s[26:27], s[34:35], -1
	s_xor_b64 s[2:3], s[36:37], -1
	s_xor_b64 s[0:1], s[28:29], -1
	s_waitcnt lgkmcnt(0)
	v_mov_b32_e32 v35, 0
	v_mov_b32_e32 v84, 0
	s_barrier
	s_and_saveexec_b64 s[28:29], s[4:5]
; %bb.97:                               ;   in Loop: Header=BB1_15 Depth=1
	ds_read_b32 v84, v81
; %bb.98:                               ;   in Loop: Header=BB1_15 Depth=1
	s_or_b64 exec, exec, s[28:29]
	s_and_saveexec_b64 s[28:29], s[30:31]
	s_cbranch_execz .LBB1_100
; %bb.99:                               ;   in Loop: Header=BB1_15 Depth=1
	ds_read_b32 v35, v80
	s_waitcnt lgkmcnt(0)
	v_mul_f32_e32 v19, v19, v35
	v_cvt_pk_bf16_f32 v35, v19, s0
.LBB1_100:                              ;   in Loop: Header=BB1_15 Depth=1
	s_or_b64 exec, exec, s[28:29]
	ds_write_b16 v75, v35
	v_mov_b32_e32 v19, 0
	v_mov_b32_e32 v35, 0
	s_and_saveexec_b64 s[28:29], s[14:15]
; %bb.101:                              ;   in Loop: Header=BB1_15 Depth=1
	ds_read_b32 v35, v81 offset:4
; %bb.102:                              ;   in Loop: Header=BB1_15 Depth=1
	s_or_b64 exec, exec, s[28:29]
	s_and_saveexec_b64 s[28:29], s[26:27]
	s_cbranch_execz .LBB1_104
; %bb.103:                              ;   in Loop: Header=BB1_15 Depth=1
	ds_read_b32 v19, v80 offset:4
	s_waitcnt lgkmcnt(0)
	v_mul_f32_e32 v18, v18, v19
	v_cvt_pk_bf16_f32 v19, v18, s0
.LBB1_104:                              ;   in Loop: Header=BB1_15 Depth=1
	s_or_b64 exec, exec, s[28:29]
	v_mov_b32_e32 v18, 0
	v_mov_b32_e32 v85, 0
	ds_write_b16 v75, v19 offset:32
	s_and_saveexec_b64 s[26:27], s[18:19]
; %bb.105:                              ;   in Loop: Header=BB1_15 Depth=1
	ds_read_b32 v85, v81 offset:8
; %bb.106:                              ;   in Loop: Header=BB1_15 Depth=1
	s_or_b64 exec, exec, s[26:27]
	s_and_saveexec_b64 s[26:27], s[2:3]
	s_cbranch_execz .LBB1_108
; %bb.107:                              ;   in Loop: Header=BB1_15 Depth=1
	ds_read_b32 v18, v80 offset:8
	s_waitcnt lgkmcnt(0)
	v_mul_f32_e32 v18, v20, v18
	v_cvt_pk_bf16_f32 v18, v18, s0
.LBB1_108:                              ;   in Loop: Header=BB1_15 Depth=1
	s_or_b64 exec, exec, s[26:27]
	ds_write_b16 v75, v18 offset:64
	v_mov_b32_e32 v18, 0
	v_mov_b32_e32 v86, 0
	s_and_saveexec_b64 s[2:3], s[22:23]
	s_cbranch_execnz .LBB1_138
; %bb.109:                              ;   in Loop: Header=BB1_15 Depth=1
	s_or_b64 exec, exec, s[2:3]
	s_and_saveexec_b64 s[2:3], s[0:1]
	s_cbranch_execnz .LBB1_139
.LBB1_110:                              ;   in Loop: Header=BB1_15 Depth=1
	s_or_b64 exec, exec, s[2:3]
	s_and_saveexec_b64 s[0:1], s[24:25]
.LBB1_111:                              ;   in Loop: Header=BB1_15 Depth=1
	ds_write_b16 v76, v18
.LBB1_112:                              ;   in Loop: Header=BB1_15 Depth=1
	s_or_b64 exec, exec, s[0:1]
	v_mov_b32_e32 v37, v36
	v_mov_b64_e32 v[18:19], v[36:37]
	s_waitcnt lgkmcnt(0)
	s_barrier
	s_and_saveexec_b64 s[0:1], s[38:39]
	s_cbranch_execz .LBB1_119
; %bb.113:                              ;   in Loop: Header=BB1_15 Depth=1
	v_mov_b32_e32 v37, v36
	v_cmp_gt_u32_e32 vcc, s75, v49
	v_mov_b64_e32 v[18:19], v[36:37]
	s_and_saveexec_b64 s[2:3], vcc
	s_cbranch_execnz .LBB1_153
; %bb.114:                              ;   in Loop: Header=BB1_15 Depth=1
	s_or_b64 exec, exec, s[2:3]
	v_cmp_gt_u32_e32 vcc, s76, v51
	s_and_saveexec_b64 s[2:3], vcc
	s_cbranch_execnz .LBB1_154
.LBB1_115:                              ;   in Loop: Header=BB1_15 Depth=1
	s_or_b64 exec, exec, s[2:3]
	v_cmp_gt_u32_e32 vcc, s76, v50
	s_and_saveexec_b64 s[2:3], vcc
	s_cbranch_execnz .LBB1_155
.LBB1_116:                              ;   in Loop: Header=BB1_15 Depth=1
	s_or_b64 exec, exec, s[2:3]
	v_cmp_gt_u32_e32 vcc, s76, v25
	s_and_saveexec_b64 s[2:3], vcc
	s_cbranch_execz .LBB1_118
.LBB1_117:                              ;   in Loop: Header=BB1_15 Depth=1
	ds_read_u16 v20, v78
	s_waitcnt lgkmcnt(0)
	v_perm_b32 v19, v20, v19, s71
.LBB1_118:                              ;   in Loop: Header=BB1_15 Depth=1
	s_or_b64 exec, exec, s[2:3]
.LBB1_119:                              ;   in Loop: Header=BB1_15 Depth=1
	s_or_b64 exec, exec, s[0:1]
	v_mov_b32_e32 v37, v36
	v_cmp_gt_u32_e32 vcc, s75, v49
	v_mov_b64_e32 v[20:21], v[36:37]
	s_and_saveexec_b64 s[0:1], vcc
	s_cbranch_execnz .LBB1_140
; %bb.120:                              ;   in Loop: Header=BB1_15 Depth=1
	s_or_b64 exec, exec, s[0:1]
	v_cmp_gt_u32_e64 s[0:1], s76, v51
	s_and_saveexec_b64 s[2:3], s[0:1]
	s_cbranch_execnz .LBB1_141
.LBB1_121:                              ;   in Loop: Header=BB1_15 Depth=1
	s_or_b64 exec, exec, s[2:3]
	v_cmp_gt_u32_e64 s[2:3], s76, v50
	s_and_saveexec_b64 s[26:27], s[2:3]
	s_cbranch_execnz .LBB1_142
.LBB1_122:                              ;   in Loop: Header=BB1_15 Depth=1
	s_or_b64 exec, exec, s[26:27]
	v_cmp_gt_u32_e64 s[26:27], s76, v25
	s_and_saveexec_b64 s[28:29], s[26:27]
	s_cbranch_execz .LBB1_124
.LBB1_123:                              ;   in Loop: Header=BB1_15 Depth=1
	ds_read_u16 v37, v55
	s_waitcnt lgkmcnt(0)
	v_perm_b32 v21, v37, v21, s71
.LBB1_124:                              ;   in Loop: Header=BB1_15 Depth=1
	s_or_b64 exec, exec, s[28:29]
	v_mov_b32_e32 v37, v36
	v_mov_b64_e32 v[42:43], v[36:37]
	s_and_saveexec_b64 s[28:29], vcc
	s_cbranch_execnz .LBB1_143
; %bb.125:                              ;   in Loop: Header=BB1_15 Depth=1
	s_or_b64 exec, exec, s[28:29]
	s_and_saveexec_b64 s[28:29], s[0:1]
	s_cbranch_execnz .LBB1_144
.LBB1_126:                              ;   in Loop: Header=BB1_15 Depth=1
	s_or_b64 exec, exec, s[28:29]
	s_and_saveexec_b64 s[28:29], s[2:3]
	s_cbranch_execnz .LBB1_145
.LBB1_127:                              ;   in Loop: Header=BB1_15 Depth=1
	s_or_b64 exec, exec, s[28:29]
	s_and_saveexec_b64 s[28:29], s[26:27]
	s_cbranch_execz .LBB1_129
.LBB1_128:                              ;   in Loop: Header=BB1_15 Depth=1
	ds_read_u16 v37, v55 offset:512
	s_waitcnt lgkmcnt(0)
	v_perm_b32 v43, v37, v43, s71
.LBB1_129:                              ;   in Loop: Header=BB1_15 Depth=1
	s_or_b64 exec, exec, s[28:29]
	v_mov_b32_e32 v37, v36
	v_mov_b64_e32 v[44:45], v[36:37]
	s_and_saveexec_b64 s[28:29], vcc
	s_cbranch_execnz .LBB1_146
; %bb.130:                              ;   in Loop: Header=BB1_15 Depth=1
	s_or_b64 exec, exec, s[28:29]
	s_and_saveexec_b64 s[28:29], s[0:1]
	s_cbranch_execnz .LBB1_147
.LBB1_131:                              ;   in Loop: Header=BB1_15 Depth=1
	s_or_b64 exec, exec, s[28:29]
	s_and_saveexec_b64 s[28:29], s[2:3]
	s_cbranch_execnz .LBB1_148
.LBB1_132:                              ;   in Loop: Header=BB1_15 Depth=1
	s_or_b64 exec, exec, s[28:29]
	s_and_saveexec_b64 s[28:29], s[26:27]
	s_cbranch_execz .LBB1_134
.LBB1_133:                              ;   in Loop: Header=BB1_15 Depth=1
	ds_read_u16 v37, v55 offset:1024
	s_waitcnt lgkmcnt(0)
	v_perm_b32 v45, v37, v45, s71
.LBB1_134:                              ;   in Loop: Header=BB1_15 Depth=1
	s_or_b64 exec, exec, s[28:29]
	v_mov_b32_e32 v37, v36
	v_mov_b64_e32 v[46:47], v[36:37]
	s_and_saveexec_b64 s[28:29], vcc
	s_cbranch_execnz .LBB1_149
; %bb.135:                              ;   in Loop: Header=BB1_15 Depth=1
	s_or_b64 exec, exec, s[28:29]
	s_and_saveexec_b64 s[28:29], s[0:1]
	s_cbranch_execnz .LBB1_150
.LBB1_136:                              ;   in Loop: Header=BB1_15 Depth=1
	s_or_b64 exec, exec, s[28:29]
	s_and_saveexec_b64 s[0:1], s[2:3]
	s_cbranch_execnz .LBB1_151
.LBB1_137:                              ;   in Loop: Header=BB1_15 Depth=1
	s_or_b64 exec, exec, s[0:1]
	s_and_saveexec_b64 s[0:1], s[26:27]
	s_cbranch_execz .LBB1_14
	s_branch .LBB1_152
.LBB1_138:                              ;   in Loop: Header=BB1_15 Depth=1
	ds_read_b32 v86, v73
	s_or_b64 exec, exec, s[2:3]
	s_and_saveexec_b64 s[2:3], s[0:1]
	s_cbranch_execz .LBB1_110
.LBB1_139:                              ;   in Loop: Header=BB1_15 Depth=1
	ds_read_b32 v18, v72
	s_waitcnt lgkmcnt(0)
	v_mul_f32_e32 v18, v21, v18
	v_cvt_pk_bf16_f32 v18, v18, s0
	s_or_b64 exec, exec, s[2:3]
	s_and_saveexec_b64 s[0:1], s[24:25]
	s_cbranch_execnz .LBB1_111
	s_branch .LBB1_112
.LBB1_140:                              ;   in Loop: Header=BB1_15 Depth=1
	ds_read_u16 v20, v54
	v_mov_b32_e32 v21, v36
	s_waitcnt lgkmcnt(0)
	v_and_b32_e32 v20, 0xffff, v20
	s_or_b64 exec, exec, s[0:1]
	v_cmp_gt_u32_e64 s[0:1], s76, v51
	s_and_saveexec_b64 s[2:3], s[0:1]
	s_cbranch_execz .LBB1_121
.LBB1_141:                              ;   in Loop: Header=BB1_15 Depth=1
	ds_read_u16 v37, v54 offset:2
	s_waitcnt lgkmcnt(0)
	v_perm_b32 v20, v37, v20, s71
	s_or_b64 exec, exec, s[2:3]
	v_cmp_gt_u32_e64 s[2:3], s76, v50
	s_and_saveexec_b64 s[26:27], s[2:3]
	s_cbranch_execz .LBB1_122
.LBB1_142:                              ;   in Loop: Header=BB1_15 Depth=1
	ds_read_u16 v37, v54 offset:4
	s_waitcnt lgkmcnt(0)
	v_bfi_b32 v21, s73, v37, v21
	s_or_b64 exec, exec, s[26:27]
	v_cmp_gt_u32_e64 s[26:27], s76, v25
	s_and_saveexec_b64 s[28:29], s[26:27]
	s_cbranch_execnz .LBB1_123
	s_branch .LBB1_124
.LBB1_143:                              ;   in Loop: Header=BB1_15 Depth=1
	ds_read_u16 v37, v54 offset:512
	v_mov_b32_e32 v43, v36
	s_waitcnt lgkmcnt(0)
	v_and_b32_e32 v42, 0xffff, v37
	s_or_b64 exec, exec, s[28:29]
	s_and_saveexec_b64 s[28:29], s[0:1]
	s_cbranch_execz .LBB1_126
.LBB1_144:                              ;   in Loop: Header=BB1_15 Depth=1
	ds_read_u16 v37, v54 offset:514
	s_waitcnt lgkmcnt(0)
	v_perm_b32 v42, v37, v42, s71
	s_or_b64 exec, exec, s[28:29]
	s_and_saveexec_b64 s[28:29], s[2:3]
	s_cbranch_execz .LBB1_127
.LBB1_145:                              ;   in Loop: Header=BB1_15 Depth=1
	ds_read_u16 v37, v54 offset:516
	s_waitcnt lgkmcnt(0)
	v_bfi_b32 v43, s73, v37, v43
	s_or_b64 exec, exec, s[28:29]
	s_and_saveexec_b64 s[28:29], s[26:27]
	s_cbranch_execnz .LBB1_128
	s_branch .LBB1_129
.LBB1_146:                              ;   in Loop: Header=BB1_15 Depth=1
	ds_read_u16 v37, v54 offset:1024
	v_mov_b32_e32 v45, v36
	s_waitcnt lgkmcnt(0)
	v_and_b32_e32 v44, 0xffff, v37
	s_or_b64 exec, exec, s[28:29]
	s_and_saveexec_b64 s[28:29], s[0:1]
	s_cbranch_execz .LBB1_131
.LBB1_147:                              ;   in Loop: Header=BB1_15 Depth=1
	ds_read_u16 v37, v54 offset:1026
	s_waitcnt lgkmcnt(0)
	v_perm_b32 v44, v37, v44, s71
	s_or_b64 exec, exec, s[28:29]
	s_and_saveexec_b64 s[28:29], s[2:3]
	s_cbranch_execz .LBB1_132
.LBB1_148:                              ;   in Loop: Header=BB1_15 Depth=1
	ds_read_u16 v37, v54 offset:1028
	s_waitcnt lgkmcnt(0)
	v_bfi_b32 v45, s73, v37, v45
	s_or_b64 exec, exec, s[28:29]
	s_and_saveexec_b64 s[28:29], s[26:27]
	s_cbranch_execnz .LBB1_133
	s_branch .LBB1_134
.LBB1_149:                              ;   in Loop: Header=BB1_15 Depth=1
	ds_read_u16 v37, v56
	v_mov_b32_e32 v47, v36
	s_waitcnt lgkmcnt(0)
	v_and_b32_e32 v46, 0xffff, v37
	s_or_b64 exec, exec, s[28:29]
	s_and_saveexec_b64 s[28:29], s[0:1]
	s_cbranch_execz .LBB1_136
.LBB1_150:                              ;   in Loop: Header=BB1_15 Depth=1
	ds_read_u16 v37, v56 offset:2
	s_waitcnt lgkmcnt(0)
	v_perm_b32 v46, v37, v46, s71
	s_or_b64 exec, exec, s[28:29]
	s_and_saveexec_b64 s[0:1], s[2:3]
	s_cbranch_execz .LBB1_137
.LBB1_151:                              ;   in Loop: Header=BB1_15 Depth=1
	ds_read_u16 v37, v56 offset:4
	s_waitcnt lgkmcnt(0)
	v_bfi_b32 v47, s73, v37, v47
	s_or_b64 exec, exec, s[0:1]
	s_and_saveexec_b64 s[0:1], s[26:27]
	s_cbranch_execz .LBB1_14
.LBB1_152:                              ;   in Loop: Header=BB1_15 Depth=1
	ds_read_u16 v37, v57
	s_waitcnt lgkmcnt(0)
	v_perm_b32 v47, v37, v47, s71
	s_branch .LBB1_14
.LBB1_153:                              ;   in Loop: Header=BB1_15 Depth=1
	ds_read_u16 v18, v77
	v_mov_b32_e32 v19, v36
	s_waitcnt lgkmcnt(0)
	v_and_b32_e32 v18, 0xffff, v18
	s_or_b64 exec, exec, s[2:3]
	v_cmp_gt_u32_e32 vcc, s76, v51
	s_and_saveexec_b64 s[2:3], vcc
	s_cbranch_execz .LBB1_115
.LBB1_154:                              ;   in Loop: Header=BB1_15 Depth=1
	ds_read_u16 v20, v77 offset:2
	s_waitcnt lgkmcnt(0)
	v_perm_b32 v18, v20, v18, s71
	s_or_b64 exec, exec, s[2:3]
	v_cmp_gt_u32_e32 vcc, s76, v50
	s_and_saveexec_b64 s[2:3], vcc
	s_cbranch_execz .LBB1_116
.LBB1_155:                              ;   in Loop: Header=BB1_15 Depth=1
	ds_read_u16 v20, v77 offset:4
	s_waitcnt lgkmcnt(0)
	v_bfi_b32 v19, s73, v20, v19
	s_or_b64 exec, exec, s[2:3]
	v_cmp_gt_u32_e32 vcc, s76, v25
	s_and_saveexec_b64 s[2:3], vcc
	s_cbranch_execnz .LBB1_117
	s_branch .LBB1_118
.LBB1_156:
	v_mov_b32_e32 v14, 0
	v_mov_b32_e32 v15, v14
	;; [unrolled: 1-line block ×4, first 2 shown]
	v_mov_b64_e32 v[2:3], v[14:15]
	v_mov_b64_e32 v[6:7], v[14:15]
	;; [unrolled: 1-line block ×6, first 2 shown]
.LBB1_157:
	s_lshl_b64 s[0:1], s[50:51], 6
	s_waitcnt lgkmcnt(0)
	s_cmp_lg_u64 s[44:45], 0
	s_cbranch_scc0 .LBB1_199
; %bb.158:
	v_cmp_eq_u32_e32 vcc, 0, v48
	s_and_saveexec_b64 s[2:3], vcc
	s_cbranch_execz .LBB1_196
; %bb.159:
	v_cmp_le_u32_e32 vcc, s49, v49
	s_and_saveexec_b64 s[4:5], vcc
	s_xor_b64 s[4:5], exec, s[4:5]
; %bb.160:
	v_mov_b32_e32 v1, 1.0
	ds_write_b32 v24, v1 offset:4928
; %bb.161:
	s_andn2_saveexec_b64 s[4:5], s[4:5]
	s_cbranch_execz .LBB1_167
; %bb.162:
	v_add_u32_e32 v18, s42, v49
	v_ashrrev_i32_e32 v19, 31, v18
	v_lshl_add_u64 v[18:19], v[18:19], 1, s[44:45]
	global_load_ushort v1, v[18:19], off
	s_movk_i32 s6, 0x1f8
	s_waitcnt vmcnt(0)
	v_lshlrev_b32_e32 v1, 16, v1
	v_cmp_class_f32_e64 s[6:7], v1, s6
	s_and_saveexec_b64 s[8:9], s[6:7]
	s_xor_b64 s[6:7], exec, s[8:9]
	s_cbranch_execz .LBB1_164
; %bb.163:
	v_add_u32_e32 v20, 0x1000, v24
	ds_read2_b32 v[18:19], v20 offset0:144 offset1:160
	v_max_f32_e32 v21, v1, v1
	s_mov_b32 s8, 0xff800000
	s_waitcnt lgkmcnt(0)
	v_max_f32_e32 v23, v19, v19
	v_max_f32_e32 v21, v23, v21
	v_sub_f32_e32 v23, v19, v21
	v_sub_f32_e32 v1, v1, v21
	v_mul_f32_e32 v23, 0x3fb8aa3b, v23
	v_exp_f32_e32 v23, v23
	v_mul_f32_e32 v1, 0x3fb8aa3b, v1
	v_exp_f32_e32 v1, v1
	v_cmp_neq_f32_e32 vcc, s8, v19
	s_nop 1
	v_cndmask_b32_e32 v19, 0, v23, vcc
	v_mul_f32_e32 v23, v18, v19
	v_fmac_f32_e32 v1, v18, v19
	v_div_scale_f32 v18, s[8:9], v1, v1, v23
	v_rcp_f32_e32 v19, v18
	v_div_scale_f32 v26, vcc, v23, v1, v23
	v_fma_f32 v27, -v18, v19, 1.0
	v_fmac_f32_e32 v19, v27, v19
	v_mul_f32_e32 v27, v26, v19
	v_fma_f32 v28, -v18, v27, v26
	v_fmac_f32_e32 v27, v28, v19
	v_fma_f32 v18, -v18, v27, v26
	v_div_fmas_f32 v18, v18, v19, v27
	v_div_fixup_f32 v18, v18, v1, v23
	v_cmp_lt_f32_e32 vcc, 0, v1
	s_nop 1
	v_cndmask_b32_e32 v18, 1.0, v18, vcc
	ds_write_b32 v24, v18 offset:4928
	ds_write2_b32 v20, v1, v21 offset0:144 offset1:160
.LBB1_164:
	s_andn2_saveexec_b64 s[6:7], s[6:7]
; %bb.165:
	v_mov_b32_e32 v1, 1.0
	ds_write_b32 v24, v1 offset:4928
; %bb.166:
	s_or_b64 exec, exec, s[6:7]
.LBB1_167:
	s_or_b64 exec, exec, s[4:5]
	v_or_b32_e32 v1, 1, v22
	v_cmp_le_u32_e32 vcc, s33, v1
	s_and_saveexec_b64 s[4:5], vcc
	s_xor_b64 s[4:5], exec, s[4:5]
	s_cbranch_execz .LBB1_171
; %bb.168:
	v_cmp_gt_u32_e32 vcc, 64, v0
	s_and_saveexec_b64 s[6:7], vcc
; %bb.169:
	v_lshlrev_b32_e32 v1, 2, v22
	v_mov_b32_e32 v18, 1.0
	ds_write_b32 v1, v18 offset:4932
; %bb.170:
	s_or_b64 exec, exec, s[6:7]
.LBB1_171:
	s_andn2_saveexec_b64 s[4:5], s[4:5]
	s_cbranch_execz .LBB1_177
; %bb.172:
	s_ashr_i32 s43, s42, 31
	v_mov_b32_e32 v23, 0
	v_lshl_add_u64 v[18:19], v[22:23], 0, s[42:43]
	v_lshl_add_u64 v[18:19], v[18:19], 1, s[44:45]
	global_load_ushort v1, v[18:19], off offset:2
	s_movk_i32 s6, 0x1f8
	s_waitcnt vmcnt(0)
	v_lshlrev_b32_e32 v1, 16, v1
	v_cmp_class_f32_e64 s[6:7], v1, s6
	s_and_saveexec_b64 s[8:9], s[6:7]
	s_xor_b64 s[6:7], exec, s[8:9]
	s_cbranch_execz .LBB1_174
; %bb.173:
	v_lshlrev_b32_e32 v20, 2, v22
	v_add_u32_e32 v21, 0x1000, v20
	ds_read2_b32 v[18:19], v21 offset0:145 offset1:161
	v_max_f32_e32 v23, v1, v1
	s_mov_b32 s8, 0xff800000
	s_waitcnt lgkmcnt(0)
	v_max_f32_e32 v26, v19, v19
	v_max_f32_e32 v23, v26, v23
	v_sub_f32_e32 v26, v19, v23
	v_sub_f32_e32 v1, v1, v23
	v_mul_f32_e32 v26, 0x3fb8aa3b, v26
	v_exp_f32_e32 v26, v26
	v_mul_f32_e32 v1, 0x3fb8aa3b, v1
	v_exp_f32_e32 v1, v1
	v_cmp_neq_f32_e32 vcc, s8, v19
	s_nop 1
	v_cndmask_b32_e32 v19, 0, v26, vcc
	v_mul_f32_e32 v26, v18, v19
	v_fmac_f32_e32 v1, v18, v19
	v_div_scale_f32 v18, s[8:9], v1, v1, v26
	v_rcp_f32_e32 v19, v18
	v_div_scale_f32 v27, vcc, v26, v1, v26
	v_fma_f32 v28, -v18, v19, 1.0
	v_fmac_f32_e32 v19, v28, v19
	v_mul_f32_e32 v28, v27, v19
	v_fma_f32 v29, -v18, v28, v27
	v_fmac_f32_e32 v28, v29, v19
	v_fma_f32 v18, -v18, v28, v27
	v_div_fmas_f32 v18, v18, v19, v28
	v_div_fixup_f32 v18, v18, v1, v26
	v_cmp_lt_f32_e32 vcc, 0, v1
	s_nop 1
	v_cndmask_b32_e32 v18, 1.0, v18, vcc
	ds_write_b32 v20, v18 offset:4932
	ds_write2_b32 v21, v1, v23 offset0:145 offset1:161
.LBB1_174:
	s_andn2_saveexec_b64 s[6:7], s[6:7]
; %bb.175:
	v_lshlrev_b32_e32 v1, 2, v22
	v_mov_b32_e32 v18, 1.0
	ds_write_b32 v1, v18 offset:4932
; %bb.176:
	s_or_b64 exec, exec, s[6:7]
.LBB1_177:
	s_or_b64 exec, exec, s[4:5]
	v_or_b32_e32 v1, 2, v22
	v_cmp_le_u32_e32 vcc, s33, v1
	s_and_saveexec_b64 s[4:5], vcc
	s_xor_b64 s[4:5], exec, s[4:5]
	s_cbranch_execz .LBB1_181
; %bb.178:
	v_cmp_gt_u32_e32 vcc, 64, v0
	s_and_saveexec_b64 s[6:7], vcc
; %bb.179:
	v_lshlrev_b32_e32 v1, 2, v22
	v_mov_b32_e32 v18, 1.0
	ds_write_b32 v1, v18 offset:4936
; %bb.180:
	s_or_b64 exec, exec, s[6:7]
.LBB1_181:
	s_andn2_saveexec_b64 s[4:5], s[4:5]
	s_cbranch_execz .LBB1_187
; %bb.182:
	s_ashr_i32 s43, s42, 31
	v_mov_b32_e32 v23, 0
	v_lshl_add_u64 v[18:19], v[22:23], 0, s[42:43]
	v_lshl_add_u64 v[18:19], v[18:19], 1, s[44:45]
	global_load_ushort v1, v[18:19], off offset:4
	s_movk_i32 s6, 0x1f8
	s_waitcnt vmcnt(0)
	v_lshlrev_b32_e32 v1, 16, v1
	v_cmp_class_f32_e64 s[6:7], v1, s6
	s_and_saveexec_b64 s[8:9], s[6:7]
	s_xor_b64 s[6:7], exec, s[8:9]
	s_cbranch_execz .LBB1_184
; %bb.183:
	v_lshlrev_b32_e32 v20, 2, v22
	v_add_u32_e32 v21, 0x1000, v20
	ds_read2_b32 v[18:19], v21 offset0:146 offset1:162
	v_max_f32_e32 v23, v1, v1
	s_mov_b32 s8, 0xff800000
	s_waitcnt lgkmcnt(0)
	v_max_f32_e32 v26, v19, v19
	v_max_f32_e32 v23, v26, v23
	v_sub_f32_e32 v26, v19, v23
	v_sub_f32_e32 v1, v1, v23
	v_mul_f32_e32 v26, 0x3fb8aa3b, v26
	v_exp_f32_e32 v26, v26
	v_mul_f32_e32 v1, 0x3fb8aa3b, v1
	v_exp_f32_e32 v1, v1
	v_cmp_neq_f32_e32 vcc, s8, v19
	s_nop 1
	v_cndmask_b32_e32 v19, 0, v26, vcc
	v_mul_f32_e32 v26, v18, v19
	v_fmac_f32_e32 v1, v18, v19
	v_div_scale_f32 v18, s[8:9], v1, v1, v26
	v_rcp_f32_e32 v19, v18
	v_div_scale_f32 v27, vcc, v26, v1, v26
	v_fma_f32 v28, -v18, v19, 1.0
	v_fmac_f32_e32 v19, v28, v19
	v_mul_f32_e32 v28, v27, v19
	v_fma_f32 v29, -v18, v28, v27
	v_fmac_f32_e32 v28, v29, v19
	v_fma_f32 v18, -v18, v28, v27
	v_div_fmas_f32 v18, v18, v19, v28
	v_div_fixup_f32 v18, v18, v1, v26
	v_cmp_lt_f32_e32 vcc, 0, v1
	s_nop 1
	v_cndmask_b32_e32 v18, 1.0, v18, vcc
	ds_write_b32 v20, v18 offset:4936
	ds_write2_b32 v21, v1, v23 offset0:146 offset1:162
.LBB1_184:
	s_andn2_saveexec_b64 s[6:7], s[6:7]
; %bb.185:
	v_lshlrev_b32_e32 v1, 2, v22
	v_mov_b32_e32 v18, 1.0
	ds_write_b32 v1, v18 offset:4936
; %bb.186:
	s_or_b64 exec, exec, s[6:7]
.LBB1_187:
	s_or_b64 exec, exec, s[4:5]
	v_cmp_le_u32_e32 vcc, s33, v25
	s_and_saveexec_b64 s[4:5], vcc
	s_xor_b64 s[4:5], exec, s[4:5]
	s_cbranch_execz .LBB1_191
; %bb.188:
	v_cmp_gt_u32_e32 vcc, 64, v0
	s_and_saveexec_b64 s[6:7], vcc
; %bb.189:
	v_lshlrev_b32_e32 v1, 2, v22
	v_mov_b32_e32 v18, 1.0
	ds_write_b32 v1, v18 offset:4940
; %bb.190:
	s_or_b64 exec, exec, s[6:7]
.LBB1_191:
	s_andn2_saveexec_b64 s[4:5], s[4:5]
	s_cbranch_execz .LBB1_196
; %bb.192:
	s_ashr_i32 s43, s42, 31
	v_mov_b32_e32 v23, 0
	v_lshl_add_u64 v[18:19], v[22:23], 0, s[42:43]
	v_lshl_add_u64 v[18:19], v[18:19], 1, s[44:45]
	global_load_ushort v1, v[18:19], off offset:6
	s_movk_i32 s4, 0x1f8
	s_waitcnt vmcnt(0)
	v_lshlrev_b32_e32 v18, 16, v1
	v_cmp_class_f32_e64 s[4:5], v18, s4
	v_lshlrev_b32_e32 v1, 2, v22
	s_and_saveexec_b64 s[6:7], s[4:5]
	s_xor_b64 s[4:5], exec, s[6:7]
	s_cbranch_execz .LBB1_194
; %bb.193:
	v_add_u32_e32 v19, 0x1000, v1
	ds_read2_b32 v[20:21], v19 offset0:147 offset1:163
	v_max_f32_e32 v23, v18, v18
	s_mov_b32 s6, 0xff800000
	s_waitcnt lgkmcnt(0)
	v_max_f32_e32 v26, v21, v21
	v_max_f32_e32 v23, v26, v23
	v_sub_f32_e32 v26, v21, v23
	v_sub_f32_e32 v18, v18, v23
	v_mul_f32_e32 v26, 0x3fb8aa3b, v26
	v_exp_f32_e32 v26, v26
	v_mul_f32_e32 v18, 0x3fb8aa3b, v18
	v_exp_f32_e32 v18, v18
	v_cmp_neq_f32_e32 vcc, s6, v21
	s_nop 1
	v_cndmask_b32_e32 v21, 0, v26, vcc
	v_mul_f32_e32 v26, v20, v21
	v_fmac_f32_e32 v18, v20, v21
	v_div_scale_f32 v20, s[6:7], v18, v18, v26
	v_rcp_f32_e32 v21, v20
	v_div_scale_f32 v27, vcc, v26, v18, v26
	v_fma_f32 v28, -v20, v21, 1.0
	v_fmac_f32_e32 v21, v28, v21
	v_mul_f32_e32 v28, v27, v21
	v_fma_f32 v29, -v20, v28, v27
	v_fmac_f32_e32 v28, v29, v21
	v_fma_f32 v20, -v20, v28, v27
	v_div_fmas_f32 v20, v20, v21, v28
	v_div_fixup_f32 v20, v20, v18, v26
	v_cmp_lt_f32_e32 vcc, 0, v18
	s_nop 1
	v_cndmask_b32_e32 v20, 1.0, v20, vcc
	ds_write_b32 v1, v20 offset:4940
	ds_write2_b32 v19, v18, v23 offset0:147 offset1:163
                                        ; implicit-def: $vgpr1
.LBB1_194:
	s_andn2_saveexec_b64 s[4:5], s[4:5]
; %bb.195:
	v_mov_b32_e32 v18, 1.0
	ds_write_b32 v1, v18 offset:4940
.LBB1_196:
	s_or_b64 exec, exec, s[2:3]
	s_waitcnt lgkmcnt(0)
	s_barrier
	ds_read_b96 v[18:20], v24 offset:4928
	v_cmp_gt_u32_e32 vcc, 64, v0
	v_mov_b32_e32 v1, 1.0
	s_and_saveexec_b64 s[2:3], vcc
; %bb.197:
	v_lshl_or_b32 v1, v22, 2, 12
	ds_read_b32 v1, v1 offset:4928
; %bb.198:
	s_or_b64 exec, exec, s[2:3]
	s_waitcnt lgkmcnt(0)
	v_pk_mul_f32 v[10:11], v[10:11], v[18:19]
	v_pk_mul_f32 v[14:15], v[14:15], v[18:19]
	;; [unrolled: 1-line block ×4, first 2 shown]
	v_mul_f32_e32 v16, v16, v20
	v_mul_f32_e32 v4, v4, v20
	;; [unrolled: 1-line block ×8, first 2 shown]
.LBB1_199:
	s_lshl_b64 s[0:1], s[0:1], 2
	s_add_u32 s0, s46, s0
	v_or_b32_e32 v18, 48, v0
	s_addc_u32 s1, s47, s1
	v_mov_b32_e32 v1, 0
	v_cmp_gt_u32_e32 vcc, s49, v49
	v_lshlrev_b32_e32 v0, 2, v48
	v_lshlrev_b32_e32 v18, 2, v18
	s_and_saveexec_b64 s[2:3], vcc
	s_cbranch_execnz .LBB1_205
; %bb.200:
	s_or_b64 exec, exec, s[2:3]
	v_cmp_gt_u32_e32 vcc, s33, v51
	s_and_saveexec_b64 s[2:3], vcc
	s_cbranch_execnz .LBB1_206
.LBB1_201:
	s_or_b64 exec, exec, s[2:3]
	v_cmp_gt_u32_e32 vcc, s33, v50
	s_and_saveexec_b64 s[2:3], vcc
	s_cbranch_execnz .LBB1_207
.LBB1_202:
	s_or_b64 exec, exec, s[2:3]
	v_cmp_gt_u32_e32 vcc, s33, v25
	s_and_b64 exec, exec, vcc
	s_cbranch_execz .LBB1_204
.LBB1_203:
	v_add_u32_e32 v2, s42, v25
	v_ashrrev_i32_e32 v3, 31, v2
	v_lshlrev_b64 v[2:3], 8, v[2:3]
	v_mov_b32_e32 v1, 0
	v_lshl_add_u64 v[2:3], s[0:1], 0, v[2:3]
	v_mov_b32_e32 v19, v1
	v_lshl_add_u64 v[6:7], v[2:3], 0, v[0:1]
	v_lshl_add_u64 v[0:1], v[2:3], 0, v[18:19]
	global_store_dword v[6:7], v17, off
	global_store_dword v[6:7], v5, off offset:64
	global_store_dword v[6:7], v9, off offset:128
	global_store_dword v[0:1], v13, off
.LBB1_204:
	s_endpgm
.LBB1_205:
	v_add_u32_e32 v20, s42, v49
	v_ashrrev_i32_e32 v21, 31, v20
	v_lshlrev_b64 v[20:21], 8, v[20:21]
	v_lshl_add_u64 v[20:21], s[0:1], 0, v[20:21]
	v_mov_b32_e32 v19, v1
	v_lshl_add_u64 v[22:23], v[20:21], 0, v[0:1]
	v_lshl_add_u64 v[20:21], v[20:21], 0, v[18:19]
	global_store_dword v[22:23], v14, off
	global_store_dword v[22:23], v2, off offset:64
	global_store_dword v[22:23], v6, off offset:128
	global_store_dword v[20:21], v10, off
	s_or_b64 exec, exec, s[2:3]
	v_cmp_gt_u32_e32 vcc, s33, v51
	s_and_saveexec_b64 s[2:3], vcc
	s_cbranch_execz .LBB1_201
.LBB1_206:
	v_add_u32_e32 v20, s42, v51
	v_ashrrev_i32_e32 v21, 31, v20
	v_lshlrev_b64 v[20:21], 8, v[20:21]
	v_lshl_add_u64 v[20:21], s[0:1], 0, v[20:21]
	v_mov_b32_e32 v1, 0
	v_lshl_add_u64 v[22:23], v[20:21], 0, v[0:1]
	v_mov_b32_e32 v19, v1
	global_store_dword v[22:23], v15, off
	global_store_dword v[22:23], v3, off offset:64
	global_store_dword v[22:23], v7, off offset:128
	v_lshl_add_u64 v[2:3], v[20:21], 0, v[18:19]
	global_store_dword v[2:3], v11, off
	s_or_b64 exec, exec, s[2:3]
	v_cmp_gt_u32_e32 vcc, s33, v50
	s_and_saveexec_b64 s[2:3], vcc
	s_cbranch_execz .LBB1_202
.LBB1_207:
	v_add_u32_e32 v2, s42, v50
	v_ashrrev_i32_e32 v3, 31, v2
	v_lshlrev_b64 v[2:3], 8, v[2:3]
	v_mov_b32_e32 v1, 0
	v_lshl_add_u64 v[2:3], s[0:1], 0, v[2:3]
	v_mov_b32_e32 v19, v1
	v_lshl_add_u64 v[6:7], v[2:3], 0, v[0:1]
	v_lshl_add_u64 v[2:3], v[2:3], 0, v[18:19]
	global_store_dword v[6:7], v16, off
	global_store_dword v[6:7], v4, off offset:64
	global_store_dword v[6:7], v8, off offset:128
	global_store_dword v[2:3], v12, off
	s_or_b64 exec, exec, s[2:3]
	v_cmp_gt_u32_e32 vcc, s33, v25
	s_and_b64 exec, exec, vcc
	s_cbranch_execnz .LBB1_203
	s_branch .LBB1_204
	.section	.rodata,"a",@progbits
	.p2align	6, 0x0
	.amdhsa_kernel _Z22fa2_decode_mfma_head64I14__hip_bfloat16Lb0ELi16ELi16EEvPKfPKvS4_S2_PKS0_PfiiiiiiiiPKiS9_xPKxS9_S9_i
		.amdhsa_group_segment_fixed_size 4992
		.amdhsa_private_segment_fixed_size 0
		.amdhsa_kernarg_size 132
		.amdhsa_user_sgpr_count 2
		.amdhsa_user_sgpr_dispatch_ptr 0
		.amdhsa_user_sgpr_queue_ptr 0
		.amdhsa_user_sgpr_kernarg_segment_ptr 1
		.amdhsa_user_sgpr_dispatch_id 0
		.amdhsa_user_sgpr_kernarg_preload_length 0
		.amdhsa_user_sgpr_kernarg_preload_offset 0
		.amdhsa_user_sgpr_private_segment_size 0
		.amdhsa_uses_dynamic_stack 0
		.amdhsa_enable_private_segment 0
		.amdhsa_system_sgpr_workgroup_id_x 1
		.amdhsa_system_sgpr_workgroup_id_y 1
		.amdhsa_system_sgpr_workgroup_id_z 0
		.amdhsa_system_sgpr_workgroup_info 0
		.amdhsa_system_vgpr_workitem_id 0
		.amdhsa_next_free_vgpr 94
		.amdhsa_next_free_sgpr 77
		.amdhsa_accum_offset 96
		.amdhsa_reserve_vcc 1
		.amdhsa_float_round_mode_32 0
		.amdhsa_float_round_mode_16_64 0
		.amdhsa_float_denorm_mode_32 3
		.amdhsa_float_denorm_mode_16_64 3
		.amdhsa_dx10_clamp 1
		.amdhsa_ieee_mode 1
		.amdhsa_fp16_overflow 0
		.amdhsa_tg_split 0
		.amdhsa_exception_fp_ieee_invalid_op 0
		.amdhsa_exception_fp_denorm_src 0
		.amdhsa_exception_fp_ieee_div_zero 0
		.amdhsa_exception_fp_ieee_overflow 0
		.amdhsa_exception_fp_ieee_underflow 0
		.amdhsa_exception_fp_ieee_inexact 0
		.amdhsa_exception_int_div_zero 0
	.end_amdhsa_kernel
	.section	.text._Z22fa2_decode_mfma_head64I14__hip_bfloat16Lb0ELi16ELi16EEvPKfPKvS4_S2_PKS0_PfiiiiiiiiPKiS9_xPKxS9_S9_i,"axG",@progbits,_Z22fa2_decode_mfma_head64I14__hip_bfloat16Lb0ELi16ELi16EEvPKfPKvS4_S2_PKS0_PfiiiiiiiiPKiS9_xPKxS9_S9_i,comdat
.Lfunc_end1:
	.size	_Z22fa2_decode_mfma_head64I14__hip_bfloat16Lb0ELi16ELi16EEvPKfPKvS4_S2_PKS0_PfiiiiiiiiPKiS9_xPKxS9_S9_i, .Lfunc_end1-_Z22fa2_decode_mfma_head64I14__hip_bfloat16Lb0ELi16ELi16EEvPKfPKvS4_S2_PKS0_PfiiiiiiiiPKiS9_xPKxS9_S9_i
                                        ; -- End function
	.set _Z22fa2_decode_mfma_head64I14__hip_bfloat16Lb0ELi16ELi16EEvPKfPKvS4_S2_PKS0_PfiiiiiiiiPKiS9_xPKxS9_S9_i.num_vgpr, 94
	.set _Z22fa2_decode_mfma_head64I14__hip_bfloat16Lb0ELi16ELi16EEvPKfPKvS4_S2_PKS0_PfiiiiiiiiPKiS9_xPKxS9_S9_i.num_agpr, 0
	.set _Z22fa2_decode_mfma_head64I14__hip_bfloat16Lb0ELi16ELi16EEvPKfPKvS4_S2_PKS0_PfiiiiiiiiPKiS9_xPKxS9_S9_i.numbered_sgpr, 77
	.set _Z22fa2_decode_mfma_head64I14__hip_bfloat16Lb0ELi16ELi16EEvPKfPKvS4_S2_PKS0_PfiiiiiiiiPKiS9_xPKxS9_S9_i.num_named_barrier, 0
	.set _Z22fa2_decode_mfma_head64I14__hip_bfloat16Lb0ELi16ELi16EEvPKfPKvS4_S2_PKS0_PfiiiiiiiiPKiS9_xPKxS9_S9_i.private_seg_size, 0
	.set _Z22fa2_decode_mfma_head64I14__hip_bfloat16Lb0ELi16ELi16EEvPKfPKvS4_S2_PKS0_PfiiiiiiiiPKiS9_xPKxS9_S9_i.uses_vcc, 1
	.set _Z22fa2_decode_mfma_head64I14__hip_bfloat16Lb0ELi16ELi16EEvPKfPKvS4_S2_PKS0_PfiiiiiiiiPKiS9_xPKxS9_S9_i.uses_flat_scratch, 0
	.set _Z22fa2_decode_mfma_head64I14__hip_bfloat16Lb0ELi16ELi16EEvPKfPKvS4_S2_PKS0_PfiiiiiiiiPKiS9_xPKxS9_S9_i.has_dyn_sized_stack, 0
	.set _Z22fa2_decode_mfma_head64I14__hip_bfloat16Lb0ELi16ELi16EEvPKfPKvS4_S2_PKS0_PfiiiiiiiiPKiS9_xPKxS9_S9_i.has_recursion, 0
	.set _Z22fa2_decode_mfma_head64I14__hip_bfloat16Lb0ELi16ELi16EEvPKfPKvS4_S2_PKS0_PfiiiiiiiiPKiS9_xPKxS9_S9_i.has_indirect_call, 0
	.section	.AMDGPU.csdata,"",@progbits
; Kernel info:
; codeLenInByte = 9360
; TotalNumSgprs: 83
; NumVgprs: 94
; NumAgprs: 0
; TotalNumVgprs: 94
; ScratchSize: 0
; MemoryBound: 0
; FloatMode: 240
; IeeeMode: 1
; LDSByteSize: 4992 bytes/workgroup (compile time only)
; SGPRBlocks: 10
; VGPRBlocks: 11
; NumSGPRsForWavesPerEU: 83
; NumVGPRsForWavesPerEU: 94
; AccumOffset: 96
; Occupancy: 5
; WaveLimiterHint : 1
; COMPUTE_PGM_RSRC2:SCRATCH_EN: 0
; COMPUTE_PGM_RSRC2:USER_SGPR: 2
; COMPUTE_PGM_RSRC2:TRAP_HANDLER: 0
; COMPUTE_PGM_RSRC2:TGID_X_EN: 1
; COMPUTE_PGM_RSRC2:TGID_Y_EN: 1
; COMPUTE_PGM_RSRC2:TGID_Z_EN: 0
; COMPUTE_PGM_RSRC2:TIDIG_COMP_CNT: 0
; COMPUTE_PGM_RSRC3_GFX90A:ACCUM_OFFSET: 23
; COMPUTE_PGM_RSRC3_GFX90A:TG_SPLIT: 0
	.section	.text._Z22fa2_decode_mfma_head64IfLb1ELi16ELi16EEvPKfPKvS3_S1_PK14__hip_bfloat16PfiiiiiiiiPKiS9_xPKxS9_S9_i,"axG",@progbits,_Z22fa2_decode_mfma_head64IfLb1ELi16ELi16EEvPKfPKvS3_S1_PK14__hip_bfloat16PfiiiiiiiiPKiS9_xPKxS9_S9_i,comdat
	.protected	_Z22fa2_decode_mfma_head64IfLb1ELi16ELi16EEvPKfPKvS3_S1_PK14__hip_bfloat16PfiiiiiiiiPKiS9_xPKxS9_S9_i ; -- Begin function _Z22fa2_decode_mfma_head64IfLb1ELi16ELi16EEvPKfPKvS3_S1_PK14__hip_bfloat16PfiiiiiiiiPKiS9_xPKxS9_S9_i
	.globl	_Z22fa2_decode_mfma_head64IfLb1ELi16ELi16EEvPKfPKvS3_S1_PK14__hip_bfloat16PfiiiiiiiiPKiS9_xPKxS9_S9_i
	.p2align	8
	.type	_Z22fa2_decode_mfma_head64IfLb1ELi16ELi16EEvPKfPKvS3_S1_PK14__hip_bfloat16PfiiiiiiiiPKiS9_xPKxS9_S9_i,@function
_Z22fa2_decode_mfma_head64IfLb1ELi16ELi16EEvPKfPKvS3_S1_PK14__hip_bfloat16PfiiiiiiiiPKiS9_xPKxS9_S9_i: ; @_Z22fa2_decode_mfma_head64IfLb1ELi16ELi16EEvPKfPKvS3_S1_PK14__hip_bfloat16PfiiiiiiiiPKiS9_xPKxS9_S9_i
; %bb.0:
	s_load_dwordx2 s[12:13], s[0:1], 0x30
	s_load_dwordx2 s[40:41], s[0:1], 0x3c
	v_cmp_gt_u32_e32 vcc, 64, v0
	s_waitcnt lgkmcnt(0)
	s_cmp_lt_i32 s3, s12
	s_cselect_b64 s[4:5], -1, 0
	s_and_b64 s[4:5], vcc, s[4:5]
	s_cmp_gt_i32 s41, 0
	s_cselect_b64 s[8:9], -1, 0
	s_and_b64 s[4:5], s[4:5], s[8:9]
	s_and_saveexec_b64 s[8:9], s[4:5]
	s_cbranch_execz .LBB2_228
; %bb.1:
	s_load_dwordx2 s[8:9], s[0:1], 0x48
	s_mul_i32 s34, s41, s2
	s_waitcnt lgkmcnt(0)
	s_cmp_ge_i32 s34, s9
	s_cbranch_scc1 .LBB2_228
; %bb.2:
	s_mov_b32 s6, s3
	s_load_dwordx4 s[20:23], s[0:1], 0x50
	s_load_dwordx2 s[14:15], s[0:1], 0x78
	s_load_dwordx4 s[16:19], s[0:1], 0x68
	s_load_dwordx2 s[10:11], s[0:1], 0x0
	s_ashr_i32 s7, s3, 31
	s_lshl_b64 s[24:25], s[6:7], 2
	s_waitcnt lgkmcnt(0)
	s_add_u32 s4, s20, s24
	s_addc_u32 s5, s21, s25
	s_ashr_i32 s21, s8, 31
	s_mov_b32 s20, s8
	s_lshl_b64 s[26:27], s[20:21], 2
	s_add_u32 s14, s14, s26
	s_addc_u32 s15, s15, s27
	s_lshl_b64 s[20:21], s[20:21], 3
	s_add_u32 s16, s16, s20
	s_addc_u32 s17, s17, s21
	s_add_u32 s18, s18, s26
	s_addc_u32 s19, s19, s27
	s_add_u32 s20, s22, s24
	s_addc_u32 s21, s23, s25
	v_cmp_gt_u32_e64 s[30:31], 16, v0
	v_lshlrev_b32_e32 v2, 2, v0
	s_and_saveexec_b64 s[22:23], s[30:31]
; %bb.3:
	v_mov_b32_e32 v1, 0xff800000
	v_mov_b32_e32 v3, 0
	v_add_u32_e32 v4, 0x1000, v2
	ds_write2_b32 v4, v3, v1 offset0:144 offset1:160
; %bb.4:
	s_or_b64 exec, exec, s[22:23]
	s_mul_hi_i32 s43, s6, s9
	s_mul_i32 s42, s6, s9
	v_and_b32_e32 v48, 15, v0
	s_lshl_b64 s[6:7], s[42:43], 8
	v_rsq_f32_e32 v4, 0x42800000
	v_add_u32_e32 v6, s34, v48
	s_add_u32 s6, s10, s6
	v_ashrrev_i32_e32 v7, 31, v6
	v_lshrrev_b32_e32 v22, 2, v0
	s_addc_u32 s7, s11, s7
	v_lshlrev_b64 v[6:7], 8, v[6:7]
	v_and_b32_e32 v49, 12, v22
	v_cmp_gt_u32_e64 s[28:29], s41, v48
	v_lshl_add_u64 v[6:7], s[6:7], 0, v[6:7]
	v_mov_b32_e32 v26, 0
	v_lshlrev_b32_e32 v24, 2, v49
	v_mov_b32_e32 v28, 0
	v_mov_b32_e32 v29, 0
	s_waitcnt lgkmcnt(0)
	s_barrier
	s_and_saveexec_b64 s[6:7], s[28:29]
	s_cbranch_execz .LBB2_6
; %bb.5:
	v_mov_b32_e32 v25, 0
	v_lshl_add_u64 v[8:9], v[6:7], 0, v[24:25]
	v_lshl_or_b32 v12, v22, 2, 12
	v_mov_b32_e32 v13, v25
	global_load_dwordx3 v[8:10], v[8:9], off
	v_lshl_add_u64 v[12:13], v[6:7], 0, v[12:13]
	global_load_dword v11, v[12:13], off
	s_waitcnt vmcnt(1)
	v_pk_mul_f32 v[8:9], v[4:5], v[8:9] op_sel_hi:[0,1]
	v_cvt_pk_bf16_f32 v28, v8, v9
	s_waitcnt vmcnt(0)
	v_pk_mul_f32 v[8:9], v[4:5], v[10:11] op_sel_hi:[0,1]
	v_cvt_pk_bf16_f32 v29, v8, v9
.LBB2_6:
	s_or_b64 exec, exec, s[6:7]
	v_mov_b32_e32 v27, 0
	s_and_saveexec_b64 s[6:7], s[28:29]
	s_cbranch_execz .LBB2_8
; %bb.7:
	v_mov_b32_e32 v25, 0
	v_mov_b32_e32 v1, 0x4c
	v_lshl_add_u64 v[8:9], v[6:7], 0, v[24:25]
	v_lshl_or_b32 v12, v22, 2, v1
	v_mov_b32_e32 v13, v25
	global_load_dwordx3 v[8:10], v[8:9], off offset:64
	v_lshl_add_u64 v[12:13], v[6:7], 0, v[12:13]
	global_load_dword v11, v[12:13], off
	s_waitcnt vmcnt(1)
	v_pk_mul_f32 v[8:9], v[4:5], v[8:9] op_sel_hi:[0,1]
	v_cvt_pk_bf16_f32 v26, v8, v9
	s_waitcnt vmcnt(0)
	v_pk_mul_f32 v[8:9], v[4:5], v[10:11] op_sel_hi:[0,1]
	v_cvt_pk_bf16_f32 v27, v8, v9
.LBB2_8:
	s_or_b64 exec, exec, s[6:7]
	v_mov_b32_e32 v30, 0
	v_mov_b32_e32 v32, 0
	;; [unrolled: 1-line block ×3, first 2 shown]
	s_and_saveexec_b64 s[6:7], s[28:29]
	s_cbranch_execz .LBB2_10
; %bb.9:
	v_mov_b32_e32 v25, 0
	v_mov_b32_e32 v1, 0x8c
	v_lshl_add_u64 v[8:9], v[6:7], 0, v[24:25]
	v_lshl_or_b32 v12, v22, 2, v1
	v_mov_b32_e32 v13, v25
	global_load_dwordx3 v[8:10], v[8:9], off offset:128
	v_lshl_add_u64 v[12:13], v[6:7], 0, v[12:13]
	global_load_dword v11, v[12:13], off
	s_waitcnt vmcnt(1)
	v_pk_mul_f32 v[8:9], v[4:5], v[8:9] op_sel_hi:[0,1]
	v_cvt_pk_bf16_f32 v32, v8, v9
	s_waitcnt vmcnt(0)
	v_pk_mul_f32 v[8:9], v[4:5], v[10:11] op_sel_hi:[0,1]
	v_cvt_pk_bf16_f32 v33, v8, v9
.LBB2_10:
	s_or_b64 exec, exec, s[6:7]
	s_load_dword s35, s[4:5], 0x0
	v_mov_b32_e32 v31, 0
	s_and_saveexec_b64 s[4:5], s[28:29]
	s_cbranch_execz .LBB2_12
; %bb.11:
	v_mov_b32_e32 v25, 0
	v_mov_b32_e32 v1, 0xcc
	v_lshl_add_u64 v[8:9], v[6:7], 0, v[24:25]
	v_lshl_or_b32 v12, v22, 2, v1
	v_mov_b32_e32 v13, v25
	global_load_dwordx3 v[8:10], v[8:9], off offset:192
	v_lshl_add_u64 v[6:7], v[6:7], 0, v[12:13]
	global_load_dword v7, v[6:7], off
	s_waitcnt vmcnt(1)
	v_mov_b32_e32 v6, v10
	v_pk_mul_f32 v[8:9], v[4:5], v[8:9] op_sel_hi:[0,1]
	s_waitcnt vmcnt(0)
	v_pk_mul_f32 v[4:5], v[4:5], v[6:7] op_sel_hi:[0,1]
	v_cvt_pk_bf16_f32 v30, v8, v9
	v_cvt_pk_bf16_f32 v31, v4, v5
.LBB2_12:
	s_or_b64 exec, exec, s[4:5]
	s_load_dwordx4 s[36:39], s[0:1], 0x20
	s_min_u32 s33, s41, 16
	s_mov_b32 s58, 0
	s_waitcnt lgkmcnt(0)
	s_cmp_gt_i32 s35, -1
	v_cmp_gt_u32_e64 s[4:5], s41, v49
	v_cmp_eq_u32_e64 s[6:7], 0, v48
	v_or_b32_e32 v51, 1, v49
	v_or_b32_e32 v50, 2, v49
	;; [unrolled: 1-line block ×3, first 2 shown]
	s_cbranch_scc0 .LBB2_177
; %bb.13:
	s_load_dwordx4 s[8:11], s[0:1], 0x8
	s_load_dwordx2 s[22:23], s[0:1], 0x18
	s_load_dword s3, s[0:1], 0x80
	s_load_dwordx2 s[24:25], s[16:17], 0x0
	s_load_dword s12, s[14:15], 0x0
	s_load_dword s59, s[18:19], 0x0
	;; [unrolled: 1-line block ×3, first 2 shown]
	s_waitcnt lgkmcnt(0)
	s_add_i32 s0, s3, -1
	s_cmp_lt_u32 s0, 16
	s_cselect_b32 s60, s3, 16
	s_add_i32 s0, s59, -1
	s_add_i32 s61, s35, 1
	s_and_b32 s0, s59, s0
	s_cmp_lg_u32 s0, 0
	s_cselect_b64 s[44:45], -1, 0
	s_ashr_i32 s3, s26, 31
	s_mul_i32 s15, s59, s40
	s_mul_hi_i32 s14, s59, s40
	s_mul_i32 s3, s15, s3
	s_mul_hi_u32 s16, s15, s26
	s_add_i32 s3, s16, s3
	s_mul_i32 s14, s14, s26
	v_mbcnt_lo_u32_b32 v3, -1, 0
	s_ashr_i32 s1, s40, 31
	s_add_i32 s3, s3, s14
	s_mul_i32 s15, s15, s26
	v_mbcnt_hi_u32_b32 v4, -1, v3
	s_add_u32 s14, s15, s24
	v_lshlrev_b32_e32 v3, 2, v4
	s_addc_u32 s15, s3, s25
	v_and_b32_e32 v23, 0x1c0, v3
	v_mov_b32_e32 v3, 0x1000
	s_lshl_b64 s[14:15], s[14:15], 2
	v_lshl_or_b32 v7, v48, 1, v3
	v_mov_b32_e32 v3, 0x800
	s_add_u32 s8, s8, s14
	v_lshl_or_b32 v3, v48, 5, v3
	v_lshlrev_b32_e32 v9, 1, v49
	v_lshlrev_b32_e32 v10, 1, v25
	;; [unrolled: 1-line block ×3, first 2 shown]
	s_addc_u32 s9, s9, s15
	v_or_b32_e32 v52, v3, v9
	v_add_u32_e32 v53, v3, v10
	v_or_b32_e32 v3, 0x600, v11
	s_add_u32 s10, s10, s14
	v_add_u32_e32 v3, 0x800, v3
	v_mov_b32_e32 v34, 0
	s_addc_u32 s11, s11, s15
	v_or_b32_e32 v54, v3, v9
	v_add_u32_e32 v55, v3, v10
	v_mov_b32_e32 v3, v34
	s_mov_b32 s0, s40
	s_ashr_i32 s3, s2, 31
	v_lshl_add_u64 v[36:37], s[8:9], 0, v[2:3]
	v_lshl_add_u64 v[38:39], s[10:11], 0, v[2:3]
	v_lshlrev_b32_e32 v2, 1, v22
	s_lshl_b64 s[46:47], s[2:3], 8
	s_lshl_b64 s[48:49], s[0:1], 2
	v_lshlrev_b32_e32 v1, 7, v48
	v_or_b32_e32 v3, 38, v2
	s_cmp_lg_u32 s12, 0
	v_bitop3_b32 v6, v4, 15, v4 bitop3:0xc
	v_add_u32_e32 v59, v1, v3
	v_or_b32_e32 v3, 0x46, v2
	v_or_b32_e32 v2, 0x66, v2
	s_cselect_b64 s[50:51], -1, 0
	s_ashr_i32 s0, s13, 31
	v_or_b32_e32 v57, v1, v9
	v_add_u32_e32 v58, v1, v10
	v_add_u32_e32 v60, v1, v3
	;; [unrolled: 1-line block ×3, first 2 shown]
	v_bitop3_b32 v1, v4, 8, 15 bitop3:8
	v_cmp_gt_u32_e32 vcc, 4, v6
	s_mul_hi_u32 s1, s35, s13
	s_mul_i32 s0, s35, s0
	v_and_b32_e32 v5, 15, v4
	v_add_lshl_u32 v62, v1, v4, 2
	v_cndmask_b32_e64 v1, 4, 0, vcc
	v_cmp_gt_u32_e32 vcc, 2, v6
	s_add_i32 s1, s1, s0
	s_mul_i32 s0, s35, s13
	v_add_lshl_u32 v63, v1, v4, 2
	v_cndmask_b32_e64 v1, 2, 0, vcc
	v_cmp_ne_u32_e32 vcc, 15, v5
	s_add_i32 s40, s59, 0x7fffffff
	s_lshl_b64 s[0:1], s[0:1], 2
	v_add_lshl_u32 v64, v1, v4, 2
	v_addc_co_u32_e32 v1, vcc, 0, v4, vcc
	s_add_u32 s52, s22, s0
	v_lshlrev_b32_e32 v65, 2, v1
	v_lshlrev_b32_e32 v1, 2, v22
	s_addc_u32 s53, s23, s1
	v_add_u32_e32 v66, 0x1200, v1
	v_add_u32_e32 v67, 0x1280, v1
	v_lshlrev_b32_e32 v1, 2, v25
	s_abs_i32 s62, s59
	v_add_u32_e32 v68, 0x1280, v1
	v_add_u32_e32 v69, 0x1300, v1
	;; [unrolled: 1-line block ×5, first 2 shown]
	v_cvt_f32_u32_e32 v1, s62
	s_movk_i32 s0, 0x100
	v_cmp_gt_u32_e64 s[8:9], s0, v0
	s_sub_i32 s0, 0, s62
	v_rcp_iflag_f32_e32 v1, v1
	v_mad_u32_u24 v8, v48, 30, v7
	v_mov_b32_e32 v78, 0x12c0
	v_add_u32_e32 v56, 0x800, v11
	v_mul_f32_e32 v1, 0x4f7ffffe, v1
	v_cvt_u32_f32_e32 v2, v1
	v_cmp_le_u32_e64 s[10:11], s41, v49
	v_cmp_gt_u32_e64 s[12:13], s33, v51
	v_cmp_le_u32_e64 s[14:15], s33, v51
	v_mul_lo_u32 v3, s0, v2
	v_mul_hi_u32 v3, v2, v3
	v_cmp_gt_u32_e64 s[16:17], s33, v50
	v_cmp_le_u32_e64 s[18:19], s33, v50
	v_cmp_gt_u32_e64 s[20:21], s33, v25
	v_cmp_le_u32_e64 s[22:23], s33, v25
	v_cmp_gt_u32_e64 s[24:25], 64, v0
	v_lshl_or_b32 v73, v49, 5, v7
	v_lshl_add_u32 v74, v25, 5, v7
	v_add_u32_e32 v75, v8, v9
	v_add_u32_e32 v76, v8, v10
	s_mov_b32 s63, s48
	s_mov_b32 s64, s49
	;; [unrolled: 1-line block ×4, first 2 shown]
	v_or_b32_e32 v1, 64, v0
	v_add_u32_e32 v77, v2, v3
	s_mov_b32 s65, 0x5040100
	s_mov_b32 s66, 0xff800000
	;; [unrolled: 1-line block ×5, first 2 shown]
	v_mov_b32_e32 v14, 0
	v_mov_b32_e32 v15, v34
	;; [unrolled: 1-line block ×16, first 2 shown]
	v_lshl_or_b32 v79, v48, 2, v78
	v_lshlrev_b32_e32 v80, 1, v0
	v_or_b32_e32 v81, 0x1200, v24
	v_or_b32_e32 v82, 0x1280, v24
	v_or_b32_e32 v83, 0x1300, v24
	v_or_b32_e32 v84, 0x1340, v24
	v_or_b32_e32 v85, 0x1240, v24
	s_branch .LBB2_15
.LBB2_14:                               ;   in Loop: Header=BB2_15 Depth=1
	s_or_b64 exec, exec, s[0:1]
	v_mul_f32_e32 v14, v14, v47
	v_mul_f32_e32 v2, v2, v47
	;; [unrolled: 1-line block ×16, first 2 shown]
	v_mfma_f32_16x16x16_bf16 v[14:17], v[18:19], v[20:21], v[14:17]
	s_add_i32 s69, s69, s60
	s_add_i32 s58, s58, 1
	s_sub_i32 s68, s68, s60
	v_mfma_f32_16x16x16_bf16 v[2:5], v[18:19], v[40:41], v[2:5]
	s_cmp_gt_i32 s69, s35
	s_barrier
	v_mfma_f32_16x16x16_bf16 v[6:9], v[18:19], v[42:43], v[6:9]
	v_mfma_f32_16x16x16_bf16 v[10:13], v[18:19], v[44:45], v[10:13]
	s_cbranch_scc1 .LBB2_178
.LBB2_15:                               ; =>This Loop Header: Depth=1
                                        ;     Child Loop BB2_30 Depth 2
                                        ;     Child Loop BB2_36 Depth 2
	s_sub_i32 s0, s61, s69
	s_min_i32 s70, s0, s60
	v_cmp_le_u32_e64 s[2:3], s70, v48
	v_cmp_gt_u32_e64 s[26:27], s70, v48
	v_add_u32_e32 v40, s69, v48
	s_mov_b64 s[56:57], 0
                                        ; implicit-def: $vgpr18
	s_and_saveexec_b64 s[0:1], s[26:27]
	s_xor_b64 s[0:1], exec, s[0:1]
	s_cbranch_execz .LBB2_57
; %bb.16:                               ;   in Loop: Header=BB2_15 Depth=1
	s_andn2_b64 vcc, exec, s[50:51]
	v_mov_b32_e32 v18, v40
	s_cbranch_vccnz .LBB2_23
; %bb.17:                               ;   in Loop: Header=BB2_15 Depth=1
	s_mov_b64 s[56:57], -1
	s_and_b64 vcc, exec, s[44:45]
                                        ; implicit-def: $vgpr18
	s_cbranch_vccz .LBB2_21
; %bb.18:                               ;   in Loop: Header=BB2_15 Depth=1
	v_cmp_le_i32_e32 vcc, s59, v40
	v_mov_b32_e32 v18, v40
	s_and_saveexec_b64 s[56:57], vcc
; %bb.19:                               ;   in Loop: Header=BB2_15 Depth=1
	v_mul_hi_u32 v18, v40, v77
	v_mul_lo_u32 v18, v18, s62
	v_sub_u32_e32 v18, v40, v18
	v_subrev_u32_e32 v19, s62, v18
	v_cmp_le_u32_e32 vcc, s62, v18
	s_nop 1
	v_cndmask_b32_e32 v18, v18, v19, vcc
	v_subrev_u32_e32 v19, s62, v18
	v_cmp_le_u32_e32 vcc, s62, v18
	s_nop 1
	v_cndmask_b32_e32 v18, v18, v19, vcc
; %bb.20:                               ;   in Loop: Header=BB2_15 Depth=1
	s_or_b64 exec, exec, s[56:57]
	s_mov_b64 s[56:57], 0
.LBB2_21:                               ;   in Loop: Header=BB2_15 Depth=1
	s_andn2_b64 vcc, exec, s[56:57]
	s_cbranch_vccnz .LBB2_23
; %bb.22:                               ;   in Loop: Header=BB2_15 Depth=1
	v_and_b32_e32 v18, s40, v40
.LBB2_23:                               ;   in Loop: Header=BB2_15 Depth=1
	s_and_b64 s[56:57], s[30:31], exec
	s_andn2_saveexec_b64 s[0:1], s[0:1]
	s_cbranch_execnz .LBB2_58
.LBB2_24:                               ;   in Loop: Header=BB2_15 Depth=1
	s_or_b64 exec, exec, s[0:1]
	s_and_saveexec_b64 s[0:1], s[56:57]
.LBB2_25:                               ;   in Loop: Header=BB2_15 Depth=1
	ds_write_b32 v79, v18
.LBB2_26:                               ;   in Loop: Header=BB2_15 Depth=1
	s_or_b64 exec, exec, s[0:1]
	s_min_u32 s71, s70, 16
	s_lshl_b32 s72, s71, 6
	v_cmp_gt_u32_e32 vcc, s72, v0
	s_waitcnt lgkmcnt(0)
	s_barrier
	s_and_saveexec_b64 s[0:1], vcc
	s_cbranch_execz .LBB2_37
; %bb.27:                               ;   in Loop: Header=BB2_15 Depth=1
	s_mul_i32 s56, s60, s58
	s_sub_i32 s56, s61, s56
	s_min_i32 s73, s60, s56
	s_mov_b64 s[56:57], -1
	s_cmp_eq_u32 s73, 1
	v_mov_b32_e32 v18, v0
	s_cbranch_scc1 .LBB2_34
; %bb.28:                               ;   in Loop: Header=BB2_15 Depth=1
	s_min_u32 s56, s73, 16
	s_add_i32 s56, s56, -1
	s_and_b32 s56, s56, 0x3ffffff
	s_add_i32 s57, s56, -1
	s_cmp_lt_u32 s57, 2
	v_mov_b64_e32 v[18:19], v[0:1]
	s_cbranch_scc1 .LBB2_31
; %bb.29:                               ;   in Loop: Header=BB2_15 Depth=1
	s_min_i32 s73, s60, s68
	s_min_u32 s73, s73, 16
	s_add_i32 s73, s73, -1
	s_and_b32 s73, s73, 0x3ffffff
	s_add_i32 s73, s73, -1
	s_lshr_b32 s73, s73, 1
	s_add_i32 s73, s73, 1
	s_and_b32 s73, s73, -2
	v_mov_b64_e32 v[18:19], v[0:1]
.LBB2_30:                               ;   Parent Loop BB2_15 Depth=1
                                        ; =>  This Inner Loop Header: Depth=2
	v_lshrrev_b32_e32 v35, 6, v18
	v_add_u32_e32 v41, 0x80, v18
	v_lshl_add_u32 v44, v35, 2, v78
	v_lshrrev_b32_e32 v41, 6, v41
	ds_read2_b32 v[44:45], v44 offset1:1
	v_lshl_add_u32 v46, v41, 2, v78
	ds_read2_b32 v[46:47], v46 offset1:1
	v_mov_b64_e32 v[20:21], s[54:55]
	v_mov_b64_e32 v[42:43], s[46:47]
	s_waitcnt lgkmcnt(1)
	v_ashrrev_i32_e32 v90, 31, v44
	v_ashrrev_i32_e32 v91, 31, v45
	v_mad_u64_u32 v[86:87], s[74:75], s63, v45, v[20:21]
	v_mul_lo_u32 v45, s64, v45
	v_mad_u64_u32 v[88:89], s[74:75], s48, v44, v[42:43]
	v_mul_lo_u32 v44, s49, v44
	v_mul_lo_u32 v91, s63, v91
	;; [unrolled: 1-line block ×3, first 2 shown]
	s_waitcnt lgkmcnt(0)
	v_ashrrev_i32_e32 v92, 31, v46
	v_ashrrev_i32_e32 v93, 31, v47
	v_mad_u64_u32 v[20:21], s[74:75], s63, v47, v[20:21]
	v_mul_lo_u32 v94, s64, v47
	v_mad_u64_u32 v[42:43], s[74:75], s48, v46, v[42:43]
	v_mul_lo_u32 v95, s49, v46
	v_add3_u32 v87, v45, v87, v91
	v_add3_u32 v89, v44, v89, v90
	v_mul_lo_u32 v90, s63, v93
	v_mul_lo_u32 v91, s48, v92
	v_lshl_add_u64 v[44:45], v[36:37], 0, v[88:89]
	v_lshl_add_u64 v[46:47], v[36:37], 0, v[86:87]
	;; [unrolled: 1-line block ×4, first 2 shown]
	v_add3_u32 v21, v94, v21, v90
	v_add3_u32 v43, v95, v43, v91
	global_load_dword v90, v[44:45], off
	global_load_dword v91, v[46:47], off
	s_nop 0
	global_load_dword v88, v[88:89], off
	s_nop 0
	global_load_dword v86, v[86:87], off
	v_lshl_add_u64 v[44:45], v[36:37], 0, v[42:43]
	v_lshl_add_u64 v[46:47], v[36:37], 0, v[20:21]
	;; [unrolled: 1-line block ×4, first 2 shown]
	global_load_dword v44, v[44:45], off
	s_nop 0
	global_load_dword v45, v[46:47], off
	s_nop 0
	;; [unrolled: 2-line block ×3, first 2 shown]
	global_load_dword v20, v[20:21], off
	v_lshlrev_b32_e32 v21, 1, v19
	s_add_i32 s73, s73, -2
	v_lshl_add_u32 v43, v35, 7, v80
	v_and_b32_e32 v46, 0xffffff80, v21
	v_lshl_add_u32 v35, v35, 1, v56
	v_add_u32_e32 v21, 0x100, v21
	v_add_u32_e32 v19, 0x100, v19
	v_add_u32_e32 v18, 0x100, v18
	s_cmp_lg_u32 s73, 0
	v_add_u32_e32 v46, v80, v46
	v_lshl_add_u32 v47, v41, 7, v80
	v_and_b32_e32 v21, 0xffffff80, v21
	v_lshl_add_u32 v41, v41, 1, v56
	v_add_u32_e32 v21, v80, v21
	s_waitcnt vmcnt(6)
	v_cvt_pk_bf16_f32 v87, v90, v91
	s_waitcnt vmcnt(4)
	v_cvt_pk_bf16_f32 v86, v88, v86
	ds_write_b16 v43, v87
	ds_write_b16_d16_hi v46, v87
	ds_write_b32 v35, v86
	s_waitcnt vmcnt(2)
	v_cvt_pk_bf16_f32 v35, v44, v45
	s_waitcnt vmcnt(0)
	v_cvt_pk_bf16_f32 v20, v42, v20
	ds_write_b16 v47, v35
	ds_write_b16_d16_hi v21, v35
	ds_write_b32 v41, v20
	s_cbranch_scc1 .LBB2_30
.LBB2_31:                               ;   in Loop: Header=BB2_15 Depth=1
	s_bitcmp1_b32 s57, 1
	s_cbranch_scc1 .LBB2_33
; %bb.32:                               ;   in Loop: Header=BB2_15 Depth=1
	v_lshrrev_b32_e32 v18, 6, v18
	v_lshl_add_u32 v20, v18, 2, v78
	ds_read2_b32 v[20:21], v20 offset1:1
	v_mov_b32_e32 v42, s54
	v_mov_b32_e32 v43, s55
	;; [unrolled: 1-line block ×4, first 2 shown]
	s_waitcnt lgkmcnt(0)
	v_ashrrev_i32_e32 v41, 31, v21
	v_ashrrev_i32_e32 v35, 31, v20
	v_mul_lo_u32 v41, s63, v41
	v_mad_u64_u32 v[42:43], s[74:75], s63, v21, v[42:43]
	v_mul_lo_u32 v21, s64, v21
	v_add3_u32 v43, v21, v43, v41
	v_mul_lo_u32 v21, s48, v35
	v_mad_u64_u32 v[44:45], s[74:75], s48, v20, v[44:45]
	v_mul_lo_u32 v20, s49, v20
	v_add3_u32 v45, v20, v45, v21
	v_lshl_add_u64 v[20:21], v[36:37], 0, v[44:45]
	v_lshl_add_u64 v[46:47], v[36:37], 0, v[42:43]
	global_load_dword v35, v[20:21], off
	global_load_dword v41, v[46:47], off
	v_lshl_add_u64 v[20:21], v[38:39], 0, v[44:45]
	v_lshl_add_u64 v[42:43], v[38:39], 0, v[42:43]
	global_load_dword v20, v[20:21], off
	s_nop 0
	global_load_dword v21, v[42:43], off
	v_lshlrev_b32_e32 v19, 1, v19
	v_lshl_add_u32 v42, v18, 7, v80
	v_and_b32_e32 v19, 0xffffff80, v19
	v_lshl_add_u32 v18, v18, 1, v56
	v_add_u32_e32 v19, v80, v19
	s_waitcnt vmcnt(2)
	v_cvt_pk_bf16_f32 v35, v35, v41
	s_waitcnt vmcnt(0)
	v_cvt_pk_bf16_f32 v20, v20, v21
	ds_write_b16 v42, v35
	ds_write_b16_d16_hi v19, v35
	ds_write_b32 v18, v20
.LBB2_33:                               ;   in Loop: Header=BB2_15 Depth=1
	s_add_i32 s56, s56, 1
	s_and_b32 s57, s56, 0x7fffffe
	s_cmp_lg_u32 s56, s57
	v_lshl_or_b32 v18, s57, 6, v0
	s_cselect_b64 s[56:57], -1, 0
.LBB2_34:                               ;   in Loop: Header=BB2_15 Depth=1
	s_and_b64 vcc, exec, s[56:57]
	s_cbranch_vccz .LBB2_37
; %bb.35:                               ;   in Loop: Header=BB2_15 Depth=1
	v_lshrrev_b32_e32 v21, 6, v18
	v_lshl_add_u32 v19, v21, 7, v80
	v_lshl_add_u32 v20, v21, 1, v56
	v_lshl_add_u32 v21, v21, 2, v78
	s_mov_b64 s[56:57], 0
.LBB2_36:                               ;   Parent Loop BB2_15 Depth=1
                                        ; =>  This Inner Loop Header: Depth=2
	ds_read_b32 v35, v21
	v_mov_b64_e32 v[42:43], s[46:47]
	v_add_u32_e32 v18, 64, v18
	v_cmp_le_u32_e32 vcc, s72, v18
	v_add_u32_e32 v21, 4, v21
	s_waitcnt lgkmcnt(0)
	v_ashrrev_i32_e32 v41, 31, v35
	v_mad_u64_u32 v[42:43], s[74:75], s48, v35, v[42:43]
	v_mul_lo_u32 v35, s49, v35
	v_mul_lo_u32 v41, s48, v41
	v_add3_u32 v43, v35, v43, v41
	v_lshl_add_u64 v[44:45], v[36:37], 0, v[42:43]
	v_lshl_add_u64 v[42:43], v[38:39], 0, v[42:43]
	global_load_dword v35, v[44:45], off
	global_load_dword v41, v[42:43], off
	s_or_b64 s[56:57], vcc, s[56:57]
	s_waitcnt vmcnt(1)
	v_cvt_pk_bf16_f32 v35, v35, s0
	s_waitcnt vmcnt(0)
	v_cvt_pk_bf16_f32 v41, v41, s0
	ds_write_b16 v19, v35
	ds_write_b16 v20, v41
	v_add_u32_e32 v19, 0x80, v19
	v_add_u32_e32 v20, 2, v20
	s_andn2_b64 exec, exec, s[56:57]
	s_cbranch_execnz .LBB2_36
.LBB2_37:                               ;   in Loop: Header=BB2_15 Depth=1
	s_or_b64 exec, exec, s[0:1]
	v_mov_b32_e32 v44, 0
	v_mov_b32_e32 v18, 0
	;; [unrolled: 1-line block ×3, first 2 shown]
	s_waitcnt lgkmcnt(0)
	s_barrier
	s_and_saveexec_b64 s[0:1], s[26:27]
	s_cbranch_execz .LBB2_41
; %bb.38:                               ;   in Loop: Header=BB2_15 Depth=1
	ds_read_u16 v19, v57 offset:4
	ds_read_b32 v18, v57
	s_waitcnt lgkmcnt(1)
	v_and_b32_e32 v19, 0xffff, v19
	s_and_saveexec_b64 s[56:57], s[8:9]
	s_cbranch_execz .LBB2_40
; %bb.39:                               ;   in Loop: Header=BB2_15 Depth=1
	ds_read_u16 v20, v58
	s_waitcnt lgkmcnt(0)
	v_perm_b32 v19, v20, v19, s65
.LBB2_40:                               ;   in Loop: Header=BB2_15 Depth=1
	s_or_b64 exec, exec, s[56:57]
.LBB2_41:                               ;   in Loop: Header=BB2_15 Depth=1
	s_or_b64 exec, exec, s[0:1]
	s_waitcnt lgkmcnt(0)
	v_mfma_f32_16x16x16_bf16 v[18:21], v[28:29], v[18:19], 0
	v_mov_b32_e32 v45, 0
	s_and_saveexec_b64 s[0:1], s[26:27]
	s_cbranch_execz .LBB2_45
; %bb.42:                               ;   in Loop: Header=BB2_15 Depth=1
	ds_read_u16 v35, v57 offset:36
	ds_read_b32 v44, v57 offset:32
	s_waitcnt lgkmcnt(1)
	v_and_b32_e32 v45, 0xffff, v35
	s_and_saveexec_b64 s[56:57], s[8:9]
	s_cbranch_execz .LBB2_44
; %bb.43:                               ;   in Loop: Header=BB2_15 Depth=1
	ds_read_u16 v35, v59
	s_waitcnt lgkmcnt(0)
	v_perm_b32 v45, v35, v45, s65
.LBB2_44:                               ;   in Loop: Header=BB2_15 Depth=1
	s_or_b64 exec, exec, s[56:57]
.LBB2_45:                               ;   in Loop: Header=BB2_15 Depth=1
	s_or_b64 exec, exec, s[0:1]
	s_waitcnt lgkmcnt(0)
	v_mfma_f32_16x16x16_bf16 v[18:21], v[26:27], v[44:45], v[18:21]
	v_mov_b32_e32 v42, 0
	v_mov_b32_e32 v46, 0
	;; [unrolled: 1-line block ×3, first 2 shown]
	s_and_saveexec_b64 s[0:1], s[26:27]
	s_cbranch_execz .LBB2_49
; %bb.46:                               ;   in Loop: Header=BB2_15 Depth=1
	ds_read_u16 v35, v57 offset:68
	ds_read_b32 v46, v57 offset:64
	s_waitcnt lgkmcnt(1)
	v_and_b32_e32 v47, 0xffff, v35
	s_and_saveexec_b64 s[56:57], s[8:9]
	s_cbranch_execz .LBB2_48
; %bb.47:                               ;   in Loop: Header=BB2_15 Depth=1
	ds_read_u16 v35, v60
	s_waitcnt lgkmcnt(0)
	v_perm_b32 v47, v35, v47, s65
.LBB2_48:                               ;   in Loop: Header=BB2_15 Depth=1
	s_or_b64 exec, exec, s[56:57]
.LBB2_49:                               ;   in Loop: Header=BB2_15 Depth=1
	s_or_b64 exec, exec, s[0:1]
	s_waitcnt lgkmcnt(0)
	v_mfma_f32_16x16x16_bf16 v[18:21], v[32:33], v[46:47], v[18:21]
	v_mov_b32_e32 v43, 0
	s_and_saveexec_b64 s[0:1], s[26:27]
	s_cbranch_execz .LBB2_53
; %bb.50:                               ;   in Loop: Header=BB2_15 Depth=1
	ds_read_u16 v35, v57 offset:100
	ds_read_b32 v42, v57 offset:96
	s_waitcnt lgkmcnt(1)
	v_and_b32_e32 v43, 0xffff, v35
	s_and_saveexec_b64 s[56:57], s[8:9]
	s_cbranch_execz .LBB2_52
; %bb.51:                               ;   in Loop: Header=BB2_15 Depth=1
	ds_read_u16 v35, v61
	s_waitcnt lgkmcnt(0)
	v_perm_b32 v43, v35, v43, s65
.LBB2_52:                               ;   in Loop: Header=BB2_15 Depth=1
	s_or_b64 exec, exec, s[56:57]
.LBB2_53:                               ;   in Loop: Header=BB2_15 Depth=1
	s_or_b64 exec, exec, s[0:1]
	s_waitcnt lgkmcnt(0)
	v_mfma_f32_16x16x16_bf16 v[18:21], v[30:31], v[42:43], v[18:21]
	v_mov_b32_e32 v44, 0
	s_and_saveexec_b64 s[0:1], s[26:27]
	s_cbranch_execz .LBB2_55
; %bb.54:                               ;   in Loop: Header=BB2_15 Depth=1
	v_mov_b32_e32 v41, v34
	v_lshl_add_u64 v[40:41], v[40:41], 2, s[52:53]
	global_load_dword v44, v[40:41], off
.LBB2_55:                               ;   in Loop: Header=BB2_15 Depth=1
	s_or_b64 exec, exec, s[0:1]
	s_mov_b64 s[0:1], s[2:3]
                                        ; implicit-def: $vgpr40
	s_and_saveexec_b64 s[56:57], s[26:27]
	s_cbranch_execz .LBB2_59
; %bb.56:                               ;   in Loop: Header=BB2_15 Depth=1
	s_andn2_b64 s[0:1], s[2:3], exec
	s_and_b64 s[72:73], s[10:11], exec
	s_waitcnt vmcnt(0)
	v_add_f32_e32 v40, v44, v18
	s_or_b64 s[0:1], s[0:1], s[72:73]
	s_or_b64 exec, exec, s[56:57]
	s_and_saveexec_b64 s[56:57], s[0:1]
	s_branch .LBB2_60
.LBB2_57:                               ;   in Loop: Header=BB2_15 Depth=1
	s_andn2_saveexec_b64 s[0:1], s[0:1]
	s_cbranch_execz .LBB2_24
.LBB2_58:                               ;   in Loop: Header=BB2_15 Depth=1
	s_andn2_b64 s[56:57], s[56:57], exec
	s_and_b64 s[72:73], s[30:31], exec
	v_mov_b32_e32 v18, 0
	s_or_b64 s[56:57], s[56:57], s[72:73]
	s_or_b64 exec, exec, s[0:1]
	s_and_saveexec_b64 s[0:1], s[56:57]
	s_cbranch_execnz .LBB2_25
	s_branch .LBB2_26
.LBB2_59:                               ;   in Loop: Header=BB2_15 Depth=1
	s_or_b64 exec, exec, s[56:57]
	s_and_saveexec_b64 s[56:57], s[0:1]
.LBB2_60:                               ;   in Loop: Header=BB2_15 Depth=1
	v_mov_b32_e32 v40, 0xff800000
; %bb.61:                               ;   in Loop: Header=BB2_15 Depth=1
	s_or_b64 exec, exec, s[56:57]
	s_mov_b64 s[0:1], s[2:3]
                                        ; implicit-def: $vgpr41
	s_and_saveexec_b64 s[56:57], s[26:27]
	s_cbranch_execz .LBB2_63
; %bb.62:                               ;   in Loop: Header=BB2_15 Depth=1
	s_andn2_b64 s[0:1], s[2:3], exec
	s_and_b64 s[72:73], s[14:15], exec
	s_waitcnt vmcnt(0)
	v_add_f32_e32 v41, v44, v19
	s_or_b64 s[0:1], s[0:1], s[72:73]
	s_or_b64 exec, exec, s[56:57]
	s_and_saveexec_b64 s[56:57], s[0:1]
	s_branch .LBB2_64
.LBB2_63:                               ;   in Loop: Header=BB2_15 Depth=1
	s_or_b64 exec, exec, s[56:57]
	s_and_saveexec_b64 s[56:57], s[0:1]
.LBB2_64:                               ;   in Loop: Header=BB2_15 Depth=1
	v_mov_b32_e32 v41, 0xff800000
; %bb.65:                               ;   in Loop: Header=BB2_15 Depth=1
	s_or_b64 exec, exec, s[56:57]
	s_mov_b64 s[0:1], s[2:3]
                                        ; implicit-def: $vgpr42
	s_and_saveexec_b64 s[56:57], s[26:27]
	s_cbranch_execz .LBB2_67
; %bb.66:                               ;   in Loop: Header=BB2_15 Depth=1
	s_andn2_b64 s[0:1], s[2:3], exec
	s_and_b64 s[72:73], s[18:19], exec
	s_waitcnt vmcnt(0)
	v_add_f32_e32 v42, v44, v20
	s_or_b64 s[0:1], s[0:1], s[72:73]
	s_or_b64 exec, exec, s[56:57]
	s_and_saveexec_b64 s[56:57], s[0:1]
	s_branch .LBB2_68
.LBB2_67:                               ;   in Loop: Header=BB2_15 Depth=1
	s_or_b64 exec, exec, s[56:57]
	s_and_saveexec_b64 s[56:57], s[0:1]
.LBB2_68:                               ;   in Loop: Header=BB2_15 Depth=1
	v_mov_b32_e32 v42, 0xff800000
; %bb.69:                               ;   in Loop: Header=BB2_15 Depth=1
	s_or_b64 exec, exec, s[56:57]
	s_mov_b64 s[0:1], s[2:3]
                                        ; implicit-def: $vgpr35
	s_and_saveexec_b64 s[56:57], s[26:27]
	s_cbranch_execz .LBB2_71
; %bb.70:                               ;   in Loop: Header=BB2_15 Depth=1
	s_andn2_b64 s[0:1], s[2:3], exec
	s_and_b64 s[72:73], s[22:23], exec
	s_waitcnt vmcnt(0)
	v_add_f32_e32 v35, v44, v21
	s_or_b64 s[0:1], s[0:1], s[72:73]
	s_or_b64 exec, exec, s[56:57]
	s_and_saveexec_b64 s[56:57], s[0:1]
	s_cbranch_execnz .LBB2_72
	s_branch .LBB2_73
.LBB2_71:                               ;   in Loop: Header=BB2_15 Depth=1
	s_or_b64 exec, exec, s[56:57]
	s_and_saveexec_b64 s[56:57], s[0:1]
.LBB2_72:                               ;   in Loop: Header=BB2_15 Depth=1
	v_mov_b32_e32 v35, 0xff800000
.LBB2_73:                               ;   in Loop: Header=BB2_15 Depth=1
	s_or_b64 exec, exec, s[56:57]
	ds_bpermute_b32 v18, v62, v40
	v_max_f32_e32 v19, v40, v40
	ds_bpermute_b32 v20, v62, v41
	v_max_f32_e32 v21, v41, v41
	ds_bpermute_b32 v43, v62, v42
	s_waitcnt lgkmcnt(2)
	v_max_f32_e32 v18, v18, v18
	v_max_f32_e32 v18, v19, v18
	ds_bpermute_b32 v19, v63, v18
	s_waitcnt lgkmcnt(2)
	v_max_f32_e32 v20, v20, v20
	v_max_f32_e32 v20, v21, v20
	ds_bpermute_b32 v21, v63, v20
	ds_bpermute_b32 v45, v62, v35
	s_waitcnt lgkmcnt(2)
	v_max_f32_e32 v19, v19, v19
	v_max_f32_e32 v18, v18, v19
	ds_bpermute_b32 v19, v64, v18
	s_waitcnt lgkmcnt(2)
	v_max_f32_e32 v21, v21, v21
	v_max_f32_e32 v20, v20, v21
	ds_bpermute_b32 v21, v64, v20
	s_waitcnt vmcnt(0)
	v_max_f32_e32 v44, v42, v42
	s_waitcnt lgkmcnt(1)
	v_max_f32_e32 v19, v19, v19
	v_max_f32_e32 v18, v18, v19
	ds_bpermute_b32 v19, v65, v18
	v_max_f32_e32 v43, v43, v43
	s_waitcnt lgkmcnt(1)
	v_max_f32_e32 v21, v21, v21
	v_max_f32_e32 v21, v20, v21
	ds_bpermute_b32 v46, v65, v21
	s_waitcnt lgkmcnt(1)
	v_max_f32_e32 v19, v19, v19
	v_max_f32_e32 v18, v18, v19
	ds_bpermute_b32 v20, v23, v18
	v_max_f32_e32 v18, v44, v43
	ds_bpermute_b32 v19, v63, v18
	v_max_f32_e32 v43, v45, v45
	v_max_f32_e32 v44, v35, v35
	;; [unrolled: 1-line block ×3, first 2 shown]
	ds_bpermute_b32 v44, v63, v43
	s_waitcnt lgkmcnt(1)
	v_max_f32_e32 v19, v19, v19
	v_max_f32_e32 v18, v18, v19
	ds_bpermute_b32 v19, v64, v18
	v_max_f32_e32 v45, v46, v46
	s_waitcnt lgkmcnt(1)
	v_max_f32_e32 v44, v44, v44
	v_max_f32_e32 v43, v43, v44
	ds_bpermute_b32 v44, v64, v43
	s_waitcnt lgkmcnt(1)
	v_max_f32_e32 v19, v19, v19
	v_max_f32_e32 v18, v18, v19
	ds_bpermute_b32 v19, v65, v18
	v_max_f32_e32 v21, v21, v45
	s_waitcnt lgkmcnt(1)
	v_max_f32_e32 v44, v44, v44
	v_max_f32_e32 v43, v43, v44
	ds_bpermute_b32 v44, v65, v43
	s_waitcnt lgkmcnt(1)
	v_max_f32_e32 v19, v19, v19
	v_max_f32_e32 v18, v18, v19
	ds_bpermute_b32 v19, v23, v18
	ds_bpermute_b32 v21, v23, v21
	s_waitcnt lgkmcnt(2)
	v_max_f32_e32 v18, v44, v44
	v_max_f32_e32 v18, v43, v18
	ds_bpermute_b32 v18, v23, v18
	s_and_saveexec_b64 s[0:1], s[6:7]
	s_cbranch_execz .LBB2_78
; %bb.74:                               ;   in Loop: Header=BB2_15 Depth=1
	ds_read_b32 v43, v82
	v_max_f32_e32 v20, v20, v20
	s_waitcnt lgkmcnt(0)
	ds_write_b32 v81, v43
	v_max_f32_e32 v43, v43, v43
	v_max_f32_e32 v20, v43, v20
	ds_write_b32 v82, v20
	s_and_saveexec_b64 s[56:57], s[24:25]
	s_cbranch_execz .LBB2_99
; %bb.75:                               ;   in Loop: Header=BB2_15 Depth=1
	ds_read_b32 v20, v67 offset:4
	v_max_f32_e32 v21, v21, v21
	s_waitcnt lgkmcnt(0)
	ds_write_b32 v66, v20 offset:4
	v_max_f32_e32 v20, v20, v20
	v_max_f32_e32 v20, v20, v21
	ds_write_b32 v67, v20 offset:4
	s_or_b64 exec, exec, s[56:57]
	s_and_saveexec_b64 s[56:57], s[24:25]
	s_cbranch_execnz .LBB2_100
.LBB2_76:                               ;   in Loop: Header=BB2_15 Depth=1
	s_or_b64 exec, exec, s[56:57]
	s_and_b64 exec, exec, s[24:25]
	s_cbranch_execz .LBB2_78
.LBB2_77:                               ;   in Loop: Header=BB2_15 Depth=1
	ds_read_b32 v19, v67 offset:12
	v_max_f32_e32 v18, v18, v18
	s_waitcnt lgkmcnt(0)
	ds_write_b32 v66, v19 offset:12
	v_max_f32_e32 v19, v19, v19
	v_max_f32_e32 v18, v19, v18
	ds_write_b32 v67, v18 offset:12
.LBB2_78:                               ;   in Loop: Header=BB2_15 Depth=1
	s_or_b64 exec, exec, s[0:1]
	s_waitcnt lgkmcnt(0)
	v_mov_b32_e32 v18, 0
	v_mov_b32_e32 v19, 0
	s_barrier
	s_and_saveexec_b64 s[0:1], s[26:27]
	s_cbranch_execz .LBB2_80
; %bb.79:                               ;   in Loop: Header=BB2_15 Depth=1
	ds_read_b32 v19, v82
	s_waitcnt lgkmcnt(0)
	v_sub_f32_e32 v20, v40, v19
	v_mul_f32_e32 v20, 0x3fb8aa3b, v20
	v_exp_f32_e32 v20, v20
	v_cmp_lg_f32_e32 vcc, s66, v19
	s_and_b64 vcc, s[4:5], vcc
	s_nop 0
	v_cndmask_b32_e32 v19, 0, v20, vcc
.LBB2_80:                               ;   in Loop: Header=BB2_15 Depth=1
	s_or_b64 exec, exec, s[0:1]
	ds_bpermute_b32 v20, v62, v19
	s_waitcnt lgkmcnt(0)
	v_add_f32_e32 v20, v19, v20
	ds_bpermute_b32 v21, v63, v20
	s_waitcnt lgkmcnt(0)
	v_add_f32_e32 v20, v20, v21
	;; [unrolled: 3-line block ×4, first 2 shown]
	ds_bpermute_b32 v43, v23, v20
	s_and_saveexec_b64 s[0:1], s[26:27]
	s_cbranch_execz .LBB2_82
; %bb.81:                               ;   in Loop: Header=BB2_15 Depth=1
	ds_read_b32 v18, v82 offset:4
	s_waitcnt lgkmcnt(0)
	v_sub_f32_e32 v20, v41, v18
	v_mul_f32_e32 v20, 0x3fb8aa3b, v20
	v_exp_f32_e32 v20, v20
	v_cmp_lg_f32_e32 vcc, s66, v18
	s_and_b64 vcc, s[12:13], vcc
	s_nop 0
	v_cndmask_b32_e32 v18, 0, v20, vcc
.LBB2_82:                               ;   in Loop: Header=BB2_15 Depth=1
	s_or_b64 exec, exec, s[0:1]
	ds_bpermute_b32 v20, v62, v18
	s_waitcnt lgkmcnt(0)
	v_add_f32_e32 v20, v18, v20
	ds_bpermute_b32 v21, v63, v20
	s_waitcnt lgkmcnt(0)
	v_add_f32_e32 v20, v20, v21
	;; [unrolled: 3-line block ×4, first 2 shown]
	ds_bpermute_b32 v41, v23, v20
	v_mov_b32_e32 v20, 0
	s_and_saveexec_b64 s[0:1], s[26:27]
	s_cbranch_execz .LBB2_84
; %bb.83:                               ;   in Loop: Header=BB2_15 Depth=1
	ds_read_b32 v20, v82 offset:8
	s_waitcnt lgkmcnt(0)
	v_sub_f32_e32 v21, v42, v20
	v_mul_f32_e32 v21, 0x3fb8aa3b, v21
	v_exp_f32_e32 v21, v21
	v_cmp_lg_f32_e32 vcc, s66, v20
	s_and_b64 vcc, s[16:17], vcc
	s_nop 0
	v_cndmask_b32_e32 v20, 0, v21, vcc
.LBB2_84:                               ;   in Loop: Header=BB2_15 Depth=1
	s_or_b64 exec, exec, s[0:1]
	ds_bpermute_b32 v21, v62, v20
	v_mov_b32_e32 v42, 0xff800000
	s_waitcnt lgkmcnt(0)
	v_add_f32_e32 v21, v20, v21
	ds_bpermute_b32 v40, v63, v21
	s_waitcnt lgkmcnt(0)
	v_add_f32_e32 v21, v21, v40
	ds_bpermute_b32 v40, v64, v21
	;; [unrolled: 3-line block ×4, first 2 shown]
	s_and_saveexec_b64 s[0:1], s[24:25]
; %bb.85:                               ;   in Loop: Header=BB2_15 Depth=1
	ds_read_b32 v42, v68
; %bb.86:                               ;   in Loop: Header=BB2_15 Depth=1
	s_or_b64 exec, exec, s[0:1]
	v_mov_b32_e32 v21, 0
	s_and_saveexec_b64 s[0:1], s[26:27]
	s_cbranch_execz .LBB2_88
; %bb.87:                               ;   in Loop: Header=BB2_15 Depth=1
	s_waitcnt lgkmcnt(0)
	v_sub_f32_e32 v21, v35, v42
	v_mul_f32_e32 v21, 0x3fb8aa3b, v21
	v_exp_f32_e32 v21, v21
	v_cmp_lg_f32_e32 vcc, s66, v42
	s_and_b64 vcc, s[20:21], vcc
	s_nop 0
	v_cndmask_b32_e32 v21, 0, v21, vcc
.LBB2_88:                               ;   in Loop: Header=BB2_15 Depth=1
	s_or_b64 exec, exec, s[0:1]
	ds_bpermute_b32 v35, v62, v21
	s_waitcnt lgkmcnt(0)
	v_add_f32_e32 v35, v21, v35
	ds_bpermute_b32 v42, v63, v35
	s_waitcnt lgkmcnt(0)
	v_add_f32_e32 v35, v35, v42
	;; [unrolled: 3-line block ×4, first 2 shown]
	ds_bpermute_b32 v35, v23, v35
	s_and_saveexec_b64 s[26:27], s[6:7]
	s_cbranch_execz .LBB2_117
; %bb.89:                               ;   in Loop: Header=BB2_15 Depth=1
	s_and_saveexec_b64 s[0:1], s[10:11]
	s_xor_b64 s[0:1], exec, s[0:1]
	s_cbranch_execz .LBB2_101
; %bb.90:                               ;   in Loop: Header=BB2_15 Depth=1
	ds_write_b32 v84, v34
	ds_write_b32 v83, v34
                                        ; implicit-def: $vgpr43
	s_andn2_saveexec_b64 s[56:57], s[0:1]
	s_cbranch_execnz .LBB2_102
.LBB2_91:                               ;   in Loop: Header=BB2_15 Depth=1
	s_or_b64 exec, exec, s[56:57]
	s_and_saveexec_b64 s[0:1], s[14:15]
	s_xor_b64 s[0:1], exec, s[0:1]
	s_cbranch_execz .LBB2_105
.LBB2_92:                               ;   in Loop: Header=BB2_15 Depth=1
	ds_write_b32 v84, v34 offset:4
	ds_write_b32 v83, v34 offset:4
                                        ; implicit-def: $vgpr41
	s_andn2_saveexec_b64 s[56:57], s[0:1]
	s_cbranch_execnz .LBB2_106
.LBB2_93:                               ;   in Loop: Header=BB2_15 Depth=1
	s_or_b64 exec, exec, s[56:57]
	s_and_saveexec_b64 s[0:1], s[18:19]
	s_xor_b64 s[0:1], exec, s[0:1]
	s_cbranch_execz .LBB2_109
.LBB2_94:                               ;   in Loop: Header=BB2_15 Depth=1
	ds_write_b32 v84, v34 offset:8
	ds_write_b32 v83, v34 offset:8
                                        ; implicit-def: $vgpr40
	s_andn2_saveexec_b64 s[56:57], s[0:1]
	s_cbranch_execnz .LBB2_110
.LBB2_95:                               ;   in Loop: Header=BB2_15 Depth=1
	s_or_b64 exec, exec, s[56:57]
	s_and_saveexec_b64 s[0:1], s[22:23]
	s_xor_b64 s[0:1], exec, s[0:1]
	s_cbranch_execz .LBB2_113
.LBB2_96:                               ;   in Loop: Header=BB2_15 Depth=1
	s_and_saveexec_b64 s[56:57], s[24:25]
	s_cbranch_execz .LBB2_98
; %bb.97:                               ;   in Loop: Header=BB2_15 Depth=1
	ds_write_b32 v70, v34
	ds_write_b32 v69, v34
.LBB2_98:                               ;   in Loop: Header=BB2_15 Depth=1
	s_or_b64 exec, exec, s[56:57]
                                        ; implicit-def: $vgpr35
	s_andn2_saveexec_b64 s[0:1], s[0:1]
	s_cbranch_execz .LBB2_117
	s_branch .LBB2_114
.LBB2_99:                               ;   in Loop: Header=BB2_15 Depth=1
	s_or_b64 exec, exec, s[56:57]
	s_and_saveexec_b64 s[56:57], s[24:25]
	s_cbranch_execz .LBB2_76
.LBB2_100:                              ;   in Loop: Header=BB2_15 Depth=1
	ds_read_b32 v20, v67 offset:8
	v_max_f32_e32 v19, v19, v19
	s_waitcnt lgkmcnt(0)
	ds_write_b32 v66, v20 offset:8
	v_max_f32_e32 v20, v20, v20
	v_max_f32_e32 v19, v20, v19
	ds_write_b32 v67, v19 offset:8
	s_or_b64 exec, exec, s[56:57]
	s_and_b64 exec, exec, s[24:25]
	s_cbranch_execnz .LBB2_77
	s_branch .LBB2_78
.LBB2_101:                              ;   in Loop: Header=BB2_15 Depth=1
	s_andn2_saveexec_b64 s[56:57], s[0:1]
	s_cbranch_execz .LBB2_91
.LBB2_102:                              ;   in Loop: Header=BB2_15 Depth=1
	ds_read_b32 v45, v81
	ds_read_b32 v42, v85
	v_mov_b32_e32 v44, 0
	s_waitcnt lgkmcnt(1)
	v_cmp_neq_f32_e32 vcc, s66, v45
	s_and_saveexec_b64 s[0:1], vcc
	s_cbranch_execz .LBB2_104
; %bb.103:                              ;   in Loop: Header=BB2_15 Depth=1
	ds_read_b32 v44, v82
	s_waitcnt lgkmcnt(0)
	v_sub_f32_e32 v44, v45, v44
	v_mul_f32_e32 v44, 0x3fb8aa3b, v44
	v_exp_f32_e32 v44, v44
.LBB2_104:                              ;   in Loop: Header=BB2_15 Depth=1
	s_or_b64 exec, exec, s[0:1]
	s_waitcnt lgkmcnt(0)
	v_mul_f32_e32 v45, v42, v44
	v_fmac_f32_e32 v43, v42, v44
	v_div_scale_f32 v42, s[0:1], v43, v43, v45
	v_rcp_f32_e32 v44, v42
	s_nop 0
	v_fma_f32 v46, -v42, v44, 1.0
	v_fmac_f32_e32 v44, v46, v44
	v_div_scale_f32 v46, vcc, v45, v43, v45
	v_mul_f32_e32 v47, v46, v44
	v_fma_f32 v86, -v42, v47, v46
	v_fmac_f32_e32 v47, v86, v44
	v_fma_f32 v42, -v42, v47, v46
	v_div_fmas_f32 v42, v42, v44, v47
	v_div_scale_f32 v44, s[0:1], v43, v43, 1.0
	v_rcp_f32_e32 v46, v44
	v_div_fixup_f32 v42, v42, v43, v45
	v_cmp_lt_f32_e64 s[0:1], 0, v43
	v_fma_f32 v45, -v44, v46, 1.0
	v_fmac_f32_e32 v46, v45, v46
	v_div_scale_f32 v45, vcc, 1.0, v43, 1.0
	v_mul_f32_e32 v47, v45, v46
	v_fma_f32 v86, -v44, v47, v45
	v_fmac_f32_e32 v47, v86, v46
	v_fma_f32 v44, -v44, v47, v45
	v_div_fmas_f32 v44, v44, v46, v47
	v_cndmask_b32_e64 v42, 0, v42, s[0:1]
	v_div_fixup_f32 v44, v44, v43, 1.0
	v_cndmask_b32_e64 v44, 0, v44, s[0:1]
	ds_write_b32 v84, v42
	ds_write_b32 v83, v44
	;; [unrolled: 1-line block ×3, first 2 shown]
	s_or_b64 exec, exec, s[56:57]
	s_and_saveexec_b64 s[0:1], s[14:15]
	s_xor_b64 s[0:1], exec, s[0:1]
	s_cbranch_execnz .LBB2_92
.LBB2_105:                              ;   in Loop: Header=BB2_15 Depth=1
	s_andn2_saveexec_b64 s[56:57], s[0:1]
	s_cbranch_execz .LBB2_93
.LBB2_106:                              ;   in Loop: Header=BB2_15 Depth=1
	ds_read_b32 v44, v81 offset:4
	ds_read_b32 v42, v85 offset:4
	v_mov_b32_e32 v43, 0
	s_waitcnt lgkmcnt(1)
	v_cmp_neq_f32_e32 vcc, s66, v44
	s_and_saveexec_b64 s[0:1], vcc
	s_cbranch_execz .LBB2_108
; %bb.107:                              ;   in Loop: Header=BB2_15 Depth=1
	ds_read_b32 v43, v82 offset:4
	s_waitcnt lgkmcnt(0)
	v_sub_f32_e32 v43, v44, v43
	v_mul_f32_e32 v43, 0x3fb8aa3b, v43
	v_exp_f32_e32 v43, v43
.LBB2_108:                              ;   in Loop: Header=BB2_15 Depth=1
	s_or_b64 exec, exec, s[0:1]
	s_waitcnt lgkmcnt(0)
	v_mul_f32_e32 v44, v42, v43
	v_fmac_f32_e32 v41, v42, v43
	v_div_scale_f32 v42, s[0:1], v41, v41, v44
	v_rcp_f32_e32 v43, v42
	s_nop 0
	v_fma_f32 v45, -v42, v43, 1.0
	v_fmac_f32_e32 v43, v45, v43
	v_div_scale_f32 v45, vcc, v44, v41, v44
	v_mul_f32_e32 v46, v45, v43
	v_fma_f32 v47, -v42, v46, v45
	v_fmac_f32_e32 v46, v47, v43
	v_fma_f32 v42, -v42, v46, v45
	v_div_fmas_f32 v42, v42, v43, v46
	v_div_scale_f32 v43, s[0:1], v41, v41, 1.0
	v_rcp_f32_e32 v45, v43
	v_div_fixup_f32 v42, v42, v41, v44
	v_cmp_lt_f32_e64 s[0:1], 0, v41
	v_fma_f32 v44, -v43, v45, 1.0
	v_fmac_f32_e32 v45, v44, v45
	v_div_scale_f32 v44, vcc, 1.0, v41, 1.0
	v_mul_f32_e32 v46, v44, v45
	v_fma_f32 v47, -v43, v46, v44
	v_fmac_f32_e32 v46, v47, v45
	v_fma_f32 v43, -v43, v46, v44
	v_div_fmas_f32 v43, v43, v45, v46
	v_cndmask_b32_e64 v42, 0, v42, s[0:1]
	v_div_fixup_f32 v43, v43, v41, 1.0
	v_cndmask_b32_e64 v43, 0, v43, s[0:1]
	ds_write_b32 v84, v42 offset:4
	ds_write_b32 v83, v43 offset:4
	;; [unrolled: 1-line block ×3, first 2 shown]
	s_or_b64 exec, exec, s[56:57]
	s_and_saveexec_b64 s[0:1], s[18:19]
	s_xor_b64 s[0:1], exec, s[0:1]
	s_cbranch_execnz .LBB2_94
.LBB2_109:                              ;   in Loop: Header=BB2_15 Depth=1
	s_andn2_saveexec_b64 s[56:57], s[0:1]
	s_cbranch_execz .LBB2_95
.LBB2_110:                              ;   in Loop: Header=BB2_15 Depth=1
	ds_read_b32 v43, v81 offset:8
	ds_read_b32 v41, v85 offset:8
	v_mov_b32_e32 v42, 0
	s_waitcnt lgkmcnt(1)
	v_cmp_neq_f32_e32 vcc, s66, v43
	s_and_saveexec_b64 s[0:1], vcc
	s_cbranch_execz .LBB2_112
; %bb.111:                              ;   in Loop: Header=BB2_15 Depth=1
	ds_read_b32 v42, v82 offset:8
	s_waitcnt lgkmcnt(0)
	v_sub_f32_e32 v42, v43, v42
	v_mul_f32_e32 v42, 0x3fb8aa3b, v42
	v_exp_f32_e32 v42, v42
.LBB2_112:                              ;   in Loop: Header=BB2_15 Depth=1
	s_or_b64 exec, exec, s[0:1]
	s_waitcnt lgkmcnt(0)
	v_mul_f32_e32 v43, v41, v42
	v_fmac_f32_e32 v40, v41, v42
	v_div_scale_f32 v41, s[0:1], v40, v40, v43
	v_rcp_f32_e32 v42, v41
	s_nop 0
	v_fma_f32 v44, -v41, v42, 1.0
	v_fmac_f32_e32 v42, v44, v42
	v_div_scale_f32 v44, vcc, v43, v40, v43
	v_mul_f32_e32 v45, v44, v42
	v_fma_f32 v46, -v41, v45, v44
	v_fmac_f32_e32 v45, v46, v42
	v_fma_f32 v41, -v41, v45, v44
	v_div_fmas_f32 v41, v41, v42, v45
	v_div_scale_f32 v42, s[0:1], v40, v40, 1.0
	v_rcp_f32_e32 v44, v42
	v_div_fixup_f32 v41, v41, v40, v43
	v_cmp_lt_f32_e64 s[0:1], 0, v40
	v_fma_f32 v43, -v42, v44, 1.0
	v_fmac_f32_e32 v44, v43, v44
	v_div_scale_f32 v43, vcc, 1.0, v40, 1.0
	v_mul_f32_e32 v45, v43, v44
	v_fma_f32 v46, -v42, v45, v43
	v_fmac_f32_e32 v45, v46, v44
	v_fma_f32 v42, -v42, v45, v43
	v_div_fmas_f32 v42, v42, v44, v45
	v_cndmask_b32_e64 v41, 0, v41, s[0:1]
	v_div_fixup_f32 v42, v42, v40, 1.0
	v_cndmask_b32_e64 v42, 0, v42, s[0:1]
	ds_write_b32 v84, v41 offset:8
	ds_write_b32 v83, v42 offset:8
	;; [unrolled: 1-line block ×3, first 2 shown]
	s_or_b64 exec, exec, s[56:57]
	s_and_saveexec_b64 s[0:1], s[22:23]
	s_xor_b64 s[0:1], exec, s[0:1]
	s_cbranch_execnz .LBB2_96
.LBB2_113:                              ;   in Loop: Header=BB2_15 Depth=1
	s_andn2_saveexec_b64 s[0:1], s[0:1]
	s_cbranch_execz .LBB2_117
.LBB2_114:                              ;   in Loop: Header=BB2_15 Depth=1
	ds_read_b32 v42, v71
	ds_read_b32 v40, v72
	v_mov_b32_e32 v41, 0
	s_waitcnt lgkmcnt(1)
	v_cmp_neq_f32_e32 vcc, s66, v42
	s_and_saveexec_b64 s[0:1], vcc
	s_cbranch_execz .LBB2_116
; %bb.115:                              ;   in Loop: Header=BB2_15 Depth=1
	ds_read_b32 v41, v68
	s_waitcnt lgkmcnt(0)
	v_sub_f32_e32 v41, v42, v41
	v_mul_f32_e32 v41, 0x3fb8aa3b, v41
	v_exp_f32_e32 v41, v41
.LBB2_116:                              ;   in Loop: Header=BB2_15 Depth=1
	s_or_b64 exec, exec, s[0:1]
	s_waitcnt lgkmcnt(0)
	v_mul_f32_e32 v42, v40, v41
	v_fmac_f32_e32 v35, v40, v41
	v_div_scale_f32 v40, s[0:1], v35, v35, v42
	v_rcp_f32_e32 v41, v40
	s_nop 0
	v_fma_f32 v43, -v40, v41, 1.0
	v_fmac_f32_e32 v41, v43, v41
	v_div_scale_f32 v43, vcc, v42, v35, v42
	v_mul_f32_e32 v44, v43, v41
	v_fma_f32 v45, -v40, v44, v43
	v_fmac_f32_e32 v44, v45, v41
	v_fma_f32 v40, -v40, v44, v43
	v_div_fmas_f32 v40, v40, v41, v44
	v_div_scale_f32 v41, s[0:1], v35, v35, 1.0
	v_rcp_f32_e32 v43, v41
	v_div_fixup_f32 v40, v40, v35, v42
	v_cmp_lt_f32_e64 s[0:1], 0, v35
	v_fma_f32 v42, -v41, v43, 1.0
	v_fmac_f32_e32 v43, v42, v43
	v_div_scale_f32 v42, vcc, 1.0, v35, 1.0
	v_mul_f32_e32 v44, v42, v43
	v_fma_f32 v45, -v41, v44, v42
	v_fmac_f32_e32 v44, v45, v43
	v_fma_f32 v41, -v41, v44, v42
	v_div_fmas_f32 v41, v41, v43, v44
	v_cndmask_b32_e64 v40, 0, v40, s[0:1]
	v_div_fixup_f32 v41, v41, v35, 1.0
	v_cndmask_b32_e64 v41, 0, v41, s[0:1]
	ds_write_b32 v70, v40
	ds_write_b32 v69, v41
	ds_write_b32 v72, v35
.LBB2_117:                              ;   in Loop: Header=BB2_15 Depth=1
	s_or_b64 exec, exec, s[26:27]
	s_waitcnt lgkmcnt(0)
	v_mov_b32_e32 v35, 0
	v_mov_b32_e32 v47, 0
	s_barrier
	s_and_saveexec_b64 s[0:1], s[4:5]
; %bb.118:                              ;   in Loop: Header=BB2_15 Depth=1
	ds_read_b32 v47, v84
; %bb.119:                              ;   in Loop: Header=BB2_15 Depth=1
	s_or_b64 exec, exec, s[0:1]
	s_nor_b64 s[26:27], s[2:3], s[10:11]
	s_and_saveexec_b64 s[0:1], s[26:27]
	s_cbranch_execz .LBB2_121
; %bb.120:                              ;   in Loop: Header=BB2_15 Depth=1
	ds_read_b32 v35, v83
	s_waitcnt lgkmcnt(0)
	v_mul_f32_e32 v19, v19, v35
	v_cvt_pk_bf16_f32 v35, v19, s0
.LBB2_121:                              ;   in Loop: Header=BB2_15 Depth=1
	s_or_b64 exec, exec, s[0:1]
	v_mov_b32_e32 v19, 0
	v_mov_b32_e32 v46, 0
	ds_write_b16 v73, v35
	s_and_saveexec_b64 s[0:1], s[12:13]
; %bb.122:                              ;   in Loop: Header=BB2_15 Depth=1
	ds_read_b32 v46, v84 offset:4
; %bb.123:                              ;   in Loop: Header=BB2_15 Depth=1
	s_or_b64 exec, exec, s[0:1]
	s_nor_b64 s[26:27], s[2:3], s[14:15]
	s_and_saveexec_b64 s[0:1], s[26:27]
	s_cbranch_execz .LBB2_125
; %bb.124:                              ;   in Loop: Header=BB2_15 Depth=1
	ds_read_b32 v19, v83 offset:4
	s_waitcnt lgkmcnt(0)
	v_mul_f32_e32 v18, v18, v19
	v_cvt_pk_bf16_f32 v19, v18, s0
.LBB2_125:                              ;   in Loop: Header=BB2_15 Depth=1
	s_or_b64 exec, exec, s[0:1]
	v_mov_b32_e32 v18, 0
	v_mov_b32_e32 v86, 0
	ds_write_b16 v73, v19 offset:32
	s_and_saveexec_b64 s[0:1], s[16:17]
; %bb.126:                              ;   in Loop: Header=BB2_15 Depth=1
	ds_read_b32 v86, v84 offset:8
; %bb.127:                              ;   in Loop: Header=BB2_15 Depth=1
	s_or_b64 exec, exec, s[0:1]
	s_nor_b64 s[26:27], s[2:3], s[18:19]
	s_and_saveexec_b64 s[0:1], s[26:27]
	s_cbranch_execz .LBB2_129
; %bb.128:                              ;   in Loop: Header=BB2_15 Depth=1
	ds_read_b32 v18, v83 offset:8
	s_waitcnt lgkmcnt(0)
	v_mul_f32_e32 v18, v20, v18
	v_cvt_pk_bf16_f32 v18, v18, s0
.LBB2_129:                              ;   in Loop: Header=BB2_15 Depth=1
	s_or_b64 exec, exec, s[0:1]
	ds_write_b16 v73, v18 offset:64
	v_mov_b32_e32 v18, 0
	v_mov_b32_e32 v87, 0
	s_and_saveexec_b64 s[0:1], s[20:21]
	s_cbranch_execz .LBB2_138
; %bb.130:                              ;   in Loop: Header=BB2_15 Depth=1
	ds_read_b32 v87, v70
	s_or_b64 exec, exec, s[0:1]
	s_nor_b64 s[2:3], s[2:3], s[22:23]
	s_and_saveexec_b64 s[0:1], s[2:3]
	s_cbranch_execnz .LBB2_139
.LBB2_131:                              ;   in Loop: Header=BB2_15 Depth=1
	s_or_b64 exec, exec, s[0:1]
	s_and_saveexec_b64 s[0:1], s[24:25]
.LBB2_132:                              ;   in Loop: Header=BB2_15 Depth=1
	ds_write_b16 v74, v18
.LBB2_133:                              ;   in Loop: Header=BB2_15 Depth=1
	s_or_b64 exec, exec, s[0:1]
	v_mov_b32_e32 v35, v34
	v_mov_b64_e32 v[18:19], v[34:35]
	s_waitcnt lgkmcnt(0)
	s_barrier
	s_and_saveexec_b64 s[0:1], s[28:29]
	s_cbranch_execz .LBB2_145
; %bb.134:                              ;   in Loop: Header=BB2_15 Depth=1
	v_mov_b32_e32 v35, v34
	v_cmp_gt_u32_e32 vcc, s70, v49
	v_mov_b64_e32 v[18:19], v[34:35]
	s_and_saveexec_b64 s[2:3], vcc
	s_cbranch_execz .LBB2_140
; %bb.135:                              ;   in Loop: Header=BB2_15 Depth=1
	ds_read_u16 v18, v75
	v_mov_b32_e32 v19, v34
	s_waitcnt lgkmcnt(0)
	v_and_b32_e32 v18, 0xffff, v18
	s_or_b64 exec, exec, s[2:3]
	v_cmp_gt_u32_e32 vcc, s71, v51
	s_and_saveexec_b64 s[2:3], vcc
	s_cbranch_execnz .LBB2_141
.LBB2_136:                              ;   in Loop: Header=BB2_15 Depth=1
	s_or_b64 exec, exec, s[2:3]
	v_cmp_gt_u32_e32 vcc, s71, v50
	s_and_saveexec_b64 s[2:3], vcc
	s_cbranch_execz .LBB2_142
.LBB2_137:                              ;   in Loop: Header=BB2_15 Depth=1
	ds_read_u16 v20, v75 offset:4
	s_waitcnt lgkmcnt(0)
	v_bfi_b32 v19, s67, v20, v19
	s_or_b64 exec, exec, s[2:3]
	v_cmp_gt_u32_e32 vcc, s71, v25
	s_and_saveexec_b64 s[2:3], vcc
	s_cbranch_execnz .LBB2_143
	s_branch .LBB2_144
.LBB2_138:                              ;   in Loop: Header=BB2_15 Depth=1
	s_or_b64 exec, exec, s[0:1]
	s_nor_b64 s[2:3], s[2:3], s[22:23]
	s_and_saveexec_b64 s[0:1], s[2:3]
	s_cbranch_execz .LBB2_131
.LBB2_139:                              ;   in Loop: Header=BB2_15 Depth=1
	ds_read_b32 v18, v69
	s_waitcnt lgkmcnt(0)
	v_mul_f32_e32 v18, v21, v18
	v_cvt_pk_bf16_f32 v18, v18, s0
	s_or_b64 exec, exec, s[0:1]
	s_and_saveexec_b64 s[0:1], s[24:25]
	s_cbranch_execnz .LBB2_132
	s_branch .LBB2_133
.LBB2_140:                              ;   in Loop: Header=BB2_15 Depth=1
	s_or_b64 exec, exec, s[2:3]
	v_cmp_gt_u32_e32 vcc, s71, v51
	s_and_saveexec_b64 s[2:3], vcc
	s_cbranch_execz .LBB2_136
.LBB2_141:                              ;   in Loop: Header=BB2_15 Depth=1
	ds_read_u16 v20, v75 offset:2
	s_waitcnt lgkmcnt(0)
	v_perm_b32 v18, v20, v18, s65
	s_or_b64 exec, exec, s[2:3]
	v_cmp_gt_u32_e32 vcc, s71, v50
	s_and_saveexec_b64 s[2:3], vcc
	s_cbranch_execnz .LBB2_137
.LBB2_142:                              ;   in Loop: Header=BB2_15 Depth=1
	s_or_b64 exec, exec, s[2:3]
	v_cmp_gt_u32_e32 vcc, s71, v25
	s_and_saveexec_b64 s[2:3], vcc
	s_cbranch_execz .LBB2_144
.LBB2_143:                              ;   in Loop: Header=BB2_15 Depth=1
	ds_read_u16 v20, v76
	s_waitcnt lgkmcnt(0)
	v_perm_b32 v19, v20, v19, s65
.LBB2_144:                              ;   in Loop: Header=BB2_15 Depth=1
	s_or_b64 exec, exec, s[2:3]
.LBB2_145:                              ;   in Loop: Header=BB2_15 Depth=1
	s_or_b64 exec, exec, s[0:1]
	v_mov_b32_e32 v35, v34
	v_cmp_gt_u32_e32 vcc, s70, v49
	v_mov_b64_e32 v[20:21], v[34:35]
	s_and_saveexec_b64 s[0:1], vcc
	s_cbranch_execz .LBB2_149
; %bb.146:                              ;   in Loop: Header=BB2_15 Depth=1
	ds_read_u16 v20, v52
	v_mov_b32_e32 v21, v34
	s_waitcnt lgkmcnt(0)
	v_and_b32_e32 v20, 0xffff, v20
	s_or_b64 exec, exec, s[0:1]
	v_cmp_gt_u32_e64 s[0:1], s71, v51
	s_and_saveexec_b64 s[2:3], s[0:1]
	s_cbranch_execnz .LBB2_150
.LBB2_147:                              ;   in Loop: Header=BB2_15 Depth=1
	s_or_b64 exec, exec, s[2:3]
	v_cmp_gt_u32_e64 s[2:3], s71, v50
	s_and_saveexec_b64 s[26:27], s[2:3]
	s_cbranch_execz .LBB2_151
.LBB2_148:                              ;   in Loop: Header=BB2_15 Depth=1
	ds_read_u16 v35, v52 offset:4
	s_waitcnt lgkmcnt(0)
	v_bfi_b32 v21, s67, v35, v21
	s_or_b64 exec, exec, s[26:27]
	v_cmp_gt_u32_e64 s[26:27], s71, v25
	s_and_saveexec_b64 s[56:57], s[26:27]
	s_cbranch_execnz .LBB2_152
	s_branch .LBB2_153
.LBB2_149:                              ;   in Loop: Header=BB2_15 Depth=1
	s_or_b64 exec, exec, s[0:1]
	v_cmp_gt_u32_e64 s[0:1], s71, v51
	s_and_saveexec_b64 s[2:3], s[0:1]
	s_cbranch_execz .LBB2_147
.LBB2_150:                              ;   in Loop: Header=BB2_15 Depth=1
	ds_read_u16 v35, v52 offset:2
	s_waitcnt lgkmcnt(0)
	v_perm_b32 v20, v35, v20, s65
	s_or_b64 exec, exec, s[2:3]
	v_cmp_gt_u32_e64 s[2:3], s71, v50
	s_and_saveexec_b64 s[26:27], s[2:3]
	s_cbranch_execnz .LBB2_148
.LBB2_151:                              ;   in Loop: Header=BB2_15 Depth=1
	s_or_b64 exec, exec, s[26:27]
	v_cmp_gt_u32_e64 s[26:27], s71, v25
	s_and_saveexec_b64 s[56:57], s[26:27]
	s_cbranch_execz .LBB2_153
.LBB2_152:                              ;   in Loop: Header=BB2_15 Depth=1
	ds_read_u16 v35, v53
	s_waitcnt lgkmcnt(0)
	v_perm_b32 v21, v35, v21, s65
.LBB2_153:                              ;   in Loop: Header=BB2_15 Depth=1
	s_or_b64 exec, exec, s[56:57]
	v_mov_b32_e32 v35, v34
	v_mov_b64_e32 v[40:41], v[34:35]
	s_and_saveexec_b64 s[56:57], vcc
	s_cbranch_execz .LBB2_157
; %bb.154:                              ;   in Loop: Header=BB2_15 Depth=1
	ds_read_u16 v35, v52 offset:512
	v_mov_b32_e32 v41, v34
	s_waitcnt lgkmcnt(0)
	v_and_b32_e32 v40, 0xffff, v35
	s_or_b64 exec, exec, s[56:57]
	s_and_saveexec_b64 s[56:57], s[0:1]
	s_cbranch_execnz .LBB2_158
.LBB2_155:                              ;   in Loop: Header=BB2_15 Depth=1
	s_or_b64 exec, exec, s[56:57]
	s_and_saveexec_b64 s[56:57], s[2:3]
	s_cbranch_execz .LBB2_159
.LBB2_156:                              ;   in Loop: Header=BB2_15 Depth=1
	ds_read_u16 v35, v52 offset:516
	s_waitcnt lgkmcnt(0)
	v_bfi_b32 v41, s67, v35, v41
	s_or_b64 exec, exec, s[56:57]
	s_and_saveexec_b64 s[56:57], s[26:27]
	s_cbranch_execnz .LBB2_160
	s_branch .LBB2_161
.LBB2_157:                              ;   in Loop: Header=BB2_15 Depth=1
	s_or_b64 exec, exec, s[56:57]
	s_and_saveexec_b64 s[56:57], s[0:1]
	s_cbranch_execz .LBB2_155
.LBB2_158:                              ;   in Loop: Header=BB2_15 Depth=1
	ds_read_u16 v35, v52 offset:514
	s_waitcnt lgkmcnt(0)
	v_perm_b32 v40, v35, v40, s65
	s_or_b64 exec, exec, s[56:57]
	s_and_saveexec_b64 s[56:57], s[2:3]
	s_cbranch_execnz .LBB2_156
.LBB2_159:                              ;   in Loop: Header=BB2_15 Depth=1
	s_or_b64 exec, exec, s[56:57]
	s_and_saveexec_b64 s[56:57], s[26:27]
	s_cbranch_execz .LBB2_161
.LBB2_160:                              ;   in Loop: Header=BB2_15 Depth=1
	ds_read_u16 v35, v53 offset:512
	s_waitcnt lgkmcnt(0)
	v_perm_b32 v41, v35, v41, s65
.LBB2_161:                              ;   in Loop: Header=BB2_15 Depth=1
	s_or_b64 exec, exec, s[56:57]
	v_mov_b32_e32 v35, v34
	v_mov_b64_e32 v[42:43], v[34:35]
	s_and_saveexec_b64 s[56:57], vcc
	s_cbranch_execz .LBB2_165
; %bb.162:                              ;   in Loop: Header=BB2_15 Depth=1
	ds_read_u16 v35, v52 offset:1024
	v_mov_b32_e32 v43, v34
	s_waitcnt lgkmcnt(0)
	v_and_b32_e32 v42, 0xffff, v35
	s_or_b64 exec, exec, s[56:57]
	s_and_saveexec_b64 s[56:57], s[0:1]
	s_cbranch_execnz .LBB2_166
.LBB2_163:                              ;   in Loop: Header=BB2_15 Depth=1
	s_or_b64 exec, exec, s[56:57]
	s_and_saveexec_b64 s[56:57], s[2:3]
	s_cbranch_execz .LBB2_167
.LBB2_164:                              ;   in Loop: Header=BB2_15 Depth=1
	ds_read_u16 v35, v52 offset:1028
	s_waitcnt lgkmcnt(0)
	v_bfi_b32 v43, s67, v35, v43
	s_or_b64 exec, exec, s[56:57]
	s_and_saveexec_b64 s[56:57], s[26:27]
	s_cbranch_execnz .LBB2_168
	s_branch .LBB2_169
.LBB2_165:                              ;   in Loop: Header=BB2_15 Depth=1
	s_or_b64 exec, exec, s[56:57]
	s_and_saveexec_b64 s[56:57], s[0:1]
	s_cbranch_execz .LBB2_163
.LBB2_166:                              ;   in Loop: Header=BB2_15 Depth=1
	ds_read_u16 v35, v52 offset:1026
	s_waitcnt lgkmcnt(0)
	v_perm_b32 v42, v35, v42, s65
	s_or_b64 exec, exec, s[56:57]
	s_and_saveexec_b64 s[56:57], s[2:3]
	s_cbranch_execnz .LBB2_164
.LBB2_167:                              ;   in Loop: Header=BB2_15 Depth=1
	s_or_b64 exec, exec, s[56:57]
	s_and_saveexec_b64 s[56:57], s[26:27]
	s_cbranch_execz .LBB2_169
.LBB2_168:                              ;   in Loop: Header=BB2_15 Depth=1
	ds_read_u16 v35, v53 offset:1024
	s_waitcnt lgkmcnt(0)
	v_perm_b32 v43, v35, v43, s65
.LBB2_169:                              ;   in Loop: Header=BB2_15 Depth=1
	s_or_b64 exec, exec, s[56:57]
	v_mov_b32_e32 v35, v34
	v_mov_b64_e32 v[44:45], v[34:35]
	s_and_saveexec_b64 s[56:57], vcc
	s_cbranch_execz .LBB2_173
; %bb.170:                              ;   in Loop: Header=BB2_15 Depth=1
	ds_read_u16 v35, v54
	v_mov_b32_e32 v45, v34
	s_waitcnt lgkmcnt(0)
	v_and_b32_e32 v44, 0xffff, v35
	s_or_b64 exec, exec, s[56:57]
	s_and_saveexec_b64 s[56:57], s[0:1]
	s_cbranch_execnz .LBB2_174
.LBB2_171:                              ;   in Loop: Header=BB2_15 Depth=1
	s_or_b64 exec, exec, s[56:57]
	s_and_saveexec_b64 s[0:1], s[2:3]
	s_cbranch_execz .LBB2_175
.LBB2_172:                              ;   in Loop: Header=BB2_15 Depth=1
	ds_read_u16 v35, v54 offset:4
	s_waitcnt lgkmcnt(0)
	v_bfi_b32 v45, s67, v35, v45
	s_or_b64 exec, exec, s[0:1]
	s_and_saveexec_b64 s[0:1], s[26:27]
	s_cbranch_execz .LBB2_14
	s_branch .LBB2_176
.LBB2_173:                              ;   in Loop: Header=BB2_15 Depth=1
	s_or_b64 exec, exec, s[56:57]
	s_and_saveexec_b64 s[56:57], s[0:1]
	s_cbranch_execz .LBB2_171
.LBB2_174:                              ;   in Loop: Header=BB2_15 Depth=1
	ds_read_u16 v35, v54 offset:2
	s_waitcnt lgkmcnt(0)
	v_perm_b32 v44, v35, v44, s65
	s_or_b64 exec, exec, s[56:57]
	s_and_saveexec_b64 s[0:1], s[2:3]
	s_cbranch_execnz .LBB2_172
.LBB2_175:                              ;   in Loop: Header=BB2_15 Depth=1
	s_or_b64 exec, exec, s[0:1]
	s_and_saveexec_b64 s[0:1], s[26:27]
	s_cbranch_execz .LBB2_14
.LBB2_176:                              ;   in Loop: Header=BB2_15 Depth=1
	ds_read_u16 v35, v55
	s_waitcnt lgkmcnt(0)
	v_perm_b32 v45, v35, v45, s65
	s_branch .LBB2_14
.LBB2_177:
	v_mov_b32_e32 v14, 0
	v_mov_b32_e32 v15, v14
	;; [unrolled: 1-line block ×4, first 2 shown]
	v_mov_b64_e32 v[2:3], v[14:15]
	v_mov_b64_e32 v[6:7], v[14:15]
	;; [unrolled: 1-line block ×6, first 2 shown]
.LBB2_178:
	s_lshl_b64 s[0:1], s[42:43], 6
	s_cmp_lg_u64 s[36:37], 0
	s_cbranch_scc0 .LBB2_220
; %bb.179:
	v_cmp_eq_u32_e32 vcc, 0, v48
	s_and_saveexec_b64 s[2:3], vcc
	s_cbranch_execz .LBB2_217
; %bb.180:
	v_cmp_le_u32_e32 vcc, s41, v49
	s_and_saveexec_b64 s[4:5], vcc
	s_xor_b64 s[4:5], exec, s[4:5]
; %bb.181:
	v_mov_b32_e32 v1, 1.0
	ds_write_b32 v24, v1 offset:4928
; %bb.182:
	s_andn2_saveexec_b64 s[4:5], s[4:5]
	s_cbranch_execz .LBB2_188
; %bb.183:
	v_add_u32_e32 v18, s34, v49
	v_ashrrev_i32_e32 v19, 31, v18
	v_lshl_add_u64 v[18:19], v[18:19], 1, s[36:37]
	global_load_ushort v1, v[18:19], off
	s_movk_i32 s6, 0x1f8
	s_waitcnt vmcnt(0)
	v_lshlrev_b32_e32 v1, 16, v1
	v_cmp_class_f32_e64 s[6:7], v1, s6
	s_and_saveexec_b64 s[8:9], s[6:7]
	s_xor_b64 s[6:7], exec, s[8:9]
	s_cbranch_execz .LBB2_185
; %bb.184:
	v_add_u32_e32 v20, 0x1000, v24
	ds_read2_b32 v[18:19], v20 offset0:144 offset1:160
	v_max_f32_e32 v21, v1, v1
	s_mov_b32 s8, 0xff800000
	s_waitcnt lgkmcnt(0)
	v_max_f32_e32 v23, v19, v19
	v_max_f32_e32 v21, v23, v21
	v_sub_f32_e32 v23, v19, v21
	v_sub_f32_e32 v1, v1, v21
	v_mul_f32_e32 v23, 0x3fb8aa3b, v23
	v_exp_f32_e32 v23, v23
	v_mul_f32_e32 v1, 0x3fb8aa3b, v1
	v_exp_f32_e32 v1, v1
	v_cmp_neq_f32_e32 vcc, s8, v19
	s_nop 1
	v_cndmask_b32_e32 v19, 0, v23, vcc
	v_mul_f32_e32 v23, v18, v19
	v_fmac_f32_e32 v1, v18, v19
	v_div_scale_f32 v18, s[8:9], v1, v1, v23
	v_rcp_f32_e32 v19, v18
	v_div_scale_f32 v26, vcc, v23, v1, v23
	v_fma_f32 v27, -v18, v19, 1.0
	v_fmac_f32_e32 v19, v27, v19
	v_mul_f32_e32 v27, v26, v19
	v_fma_f32 v28, -v18, v27, v26
	v_fmac_f32_e32 v27, v28, v19
	v_fma_f32 v18, -v18, v27, v26
	v_div_fmas_f32 v18, v18, v19, v27
	v_div_fixup_f32 v18, v18, v1, v23
	v_cmp_lt_f32_e32 vcc, 0, v1
	s_nop 1
	v_cndmask_b32_e32 v18, 1.0, v18, vcc
	ds_write_b32 v24, v18 offset:4928
	ds_write2_b32 v20, v1, v21 offset0:144 offset1:160
.LBB2_185:
	s_andn2_saveexec_b64 s[6:7], s[6:7]
; %bb.186:
	v_mov_b32_e32 v1, 1.0
	ds_write_b32 v24, v1 offset:4928
; %bb.187:
	s_or_b64 exec, exec, s[6:7]
.LBB2_188:
	s_or_b64 exec, exec, s[4:5]
	v_or_b32_e32 v1, 1, v22
	v_cmp_le_u32_e32 vcc, s33, v1
	s_and_saveexec_b64 s[4:5], vcc
	s_xor_b64 s[4:5], exec, s[4:5]
	s_cbranch_execz .LBB2_192
; %bb.189:
	v_cmp_gt_u32_e32 vcc, 64, v0
	s_and_saveexec_b64 s[6:7], vcc
; %bb.190:
	v_lshlrev_b32_e32 v1, 2, v22
	v_mov_b32_e32 v18, 1.0
	ds_write_b32 v1, v18 offset:4932
; %bb.191:
	s_or_b64 exec, exec, s[6:7]
.LBB2_192:
	s_andn2_saveexec_b64 s[4:5], s[4:5]
	s_cbranch_execz .LBB2_198
; %bb.193:
	s_ashr_i32 s35, s34, 31
	v_mov_b32_e32 v23, 0
	v_lshl_add_u64 v[18:19], v[22:23], 0, s[34:35]
	v_lshl_add_u64 v[18:19], v[18:19], 1, s[36:37]
	global_load_ushort v1, v[18:19], off offset:2
	s_movk_i32 s6, 0x1f8
	s_waitcnt vmcnt(0)
	v_lshlrev_b32_e32 v1, 16, v1
	v_cmp_class_f32_e64 s[6:7], v1, s6
	s_and_saveexec_b64 s[8:9], s[6:7]
	s_xor_b64 s[6:7], exec, s[8:9]
	s_cbranch_execz .LBB2_195
; %bb.194:
	v_lshlrev_b32_e32 v20, 2, v22
	v_add_u32_e32 v21, 0x1000, v20
	ds_read2_b32 v[18:19], v21 offset0:145 offset1:161
	v_max_f32_e32 v23, v1, v1
	s_mov_b32 s8, 0xff800000
	s_waitcnt lgkmcnt(0)
	v_max_f32_e32 v26, v19, v19
	v_max_f32_e32 v23, v26, v23
	v_sub_f32_e32 v26, v19, v23
	v_sub_f32_e32 v1, v1, v23
	v_mul_f32_e32 v26, 0x3fb8aa3b, v26
	v_exp_f32_e32 v26, v26
	v_mul_f32_e32 v1, 0x3fb8aa3b, v1
	v_exp_f32_e32 v1, v1
	v_cmp_neq_f32_e32 vcc, s8, v19
	s_nop 1
	v_cndmask_b32_e32 v19, 0, v26, vcc
	v_mul_f32_e32 v26, v18, v19
	v_fmac_f32_e32 v1, v18, v19
	v_div_scale_f32 v18, s[8:9], v1, v1, v26
	v_rcp_f32_e32 v19, v18
	v_div_scale_f32 v27, vcc, v26, v1, v26
	v_fma_f32 v28, -v18, v19, 1.0
	v_fmac_f32_e32 v19, v28, v19
	v_mul_f32_e32 v28, v27, v19
	v_fma_f32 v29, -v18, v28, v27
	v_fmac_f32_e32 v28, v29, v19
	v_fma_f32 v18, -v18, v28, v27
	v_div_fmas_f32 v18, v18, v19, v28
	v_div_fixup_f32 v18, v18, v1, v26
	v_cmp_lt_f32_e32 vcc, 0, v1
	s_nop 1
	v_cndmask_b32_e32 v18, 1.0, v18, vcc
	ds_write_b32 v20, v18 offset:4932
	ds_write2_b32 v21, v1, v23 offset0:145 offset1:161
.LBB2_195:
	s_andn2_saveexec_b64 s[6:7], s[6:7]
; %bb.196:
	v_lshlrev_b32_e32 v1, 2, v22
	v_mov_b32_e32 v18, 1.0
	ds_write_b32 v1, v18 offset:4932
; %bb.197:
	s_or_b64 exec, exec, s[6:7]
.LBB2_198:
	s_or_b64 exec, exec, s[4:5]
	v_or_b32_e32 v1, 2, v22
	v_cmp_le_u32_e32 vcc, s33, v1
	s_and_saveexec_b64 s[4:5], vcc
	s_xor_b64 s[4:5], exec, s[4:5]
	s_cbranch_execz .LBB2_202
; %bb.199:
	v_cmp_gt_u32_e32 vcc, 64, v0
	s_and_saveexec_b64 s[6:7], vcc
; %bb.200:
	v_lshlrev_b32_e32 v1, 2, v22
	v_mov_b32_e32 v18, 1.0
	ds_write_b32 v1, v18 offset:4936
; %bb.201:
	s_or_b64 exec, exec, s[6:7]
.LBB2_202:
	s_andn2_saveexec_b64 s[4:5], s[4:5]
	s_cbranch_execz .LBB2_208
; %bb.203:
	s_ashr_i32 s35, s34, 31
	v_mov_b32_e32 v23, 0
	v_lshl_add_u64 v[18:19], v[22:23], 0, s[34:35]
	v_lshl_add_u64 v[18:19], v[18:19], 1, s[36:37]
	global_load_ushort v1, v[18:19], off offset:4
	s_movk_i32 s6, 0x1f8
	s_waitcnt vmcnt(0)
	v_lshlrev_b32_e32 v1, 16, v1
	v_cmp_class_f32_e64 s[6:7], v1, s6
	s_and_saveexec_b64 s[8:9], s[6:7]
	s_xor_b64 s[6:7], exec, s[8:9]
	s_cbranch_execz .LBB2_205
; %bb.204:
	v_lshlrev_b32_e32 v20, 2, v22
	v_add_u32_e32 v21, 0x1000, v20
	ds_read2_b32 v[18:19], v21 offset0:146 offset1:162
	v_max_f32_e32 v23, v1, v1
	s_mov_b32 s8, 0xff800000
	s_waitcnt lgkmcnt(0)
	v_max_f32_e32 v26, v19, v19
	v_max_f32_e32 v23, v26, v23
	v_sub_f32_e32 v26, v19, v23
	v_sub_f32_e32 v1, v1, v23
	v_mul_f32_e32 v26, 0x3fb8aa3b, v26
	v_exp_f32_e32 v26, v26
	v_mul_f32_e32 v1, 0x3fb8aa3b, v1
	v_exp_f32_e32 v1, v1
	v_cmp_neq_f32_e32 vcc, s8, v19
	s_nop 1
	v_cndmask_b32_e32 v19, 0, v26, vcc
	v_mul_f32_e32 v26, v18, v19
	v_fmac_f32_e32 v1, v18, v19
	v_div_scale_f32 v18, s[8:9], v1, v1, v26
	v_rcp_f32_e32 v19, v18
	v_div_scale_f32 v27, vcc, v26, v1, v26
	v_fma_f32 v28, -v18, v19, 1.0
	v_fmac_f32_e32 v19, v28, v19
	v_mul_f32_e32 v28, v27, v19
	v_fma_f32 v29, -v18, v28, v27
	v_fmac_f32_e32 v28, v29, v19
	v_fma_f32 v18, -v18, v28, v27
	v_div_fmas_f32 v18, v18, v19, v28
	v_div_fixup_f32 v18, v18, v1, v26
	v_cmp_lt_f32_e32 vcc, 0, v1
	s_nop 1
	v_cndmask_b32_e32 v18, 1.0, v18, vcc
	ds_write_b32 v20, v18 offset:4936
	ds_write2_b32 v21, v1, v23 offset0:146 offset1:162
.LBB2_205:
	s_andn2_saveexec_b64 s[6:7], s[6:7]
; %bb.206:
	v_lshlrev_b32_e32 v1, 2, v22
	v_mov_b32_e32 v18, 1.0
	ds_write_b32 v1, v18 offset:4936
; %bb.207:
	s_or_b64 exec, exec, s[6:7]
.LBB2_208:
	s_or_b64 exec, exec, s[4:5]
	v_cmp_le_u32_e32 vcc, s33, v25
	s_and_saveexec_b64 s[4:5], vcc
	s_xor_b64 s[4:5], exec, s[4:5]
	s_cbranch_execz .LBB2_212
; %bb.209:
	v_cmp_gt_u32_e32 vcc, 64, v0
	s_and_saveexec_b64 s[6:7], vcc
; %bb.210:
	v_lshlrev_b32_e32 v1, 2, v22
	v_mov_b32_e32 v18, 1.0
	ds_write_b32 v1, v18 offset:4940
; %bb.211:
	s_or_b64 exec, exec, s[6:7]
.LBB2_212:
	s_andn2_saveexec_b64 s[4:5], s[4:5]
	s_cbranch_execz .LBB2_217
; %bb.213:
	s_ashr_i32 s35, s34, 31
	v_mov_b32_e32 v23, 0
	v_lshl_add_u64 v[18:19], v[22:23], 0, s[34:35]
	v_lshl_add_u64 v[18:19], v[18:19], 1, s[36:37]
	global_load_ushort v1, v[18:19], off offset:6
	s_movk_i32 s4, 0x1f8
	s_waitcnt vmcnt(0)
	v_lshlrev_b32_e32 v18, 16, v1
	v_cmp_class_f32_e64 s[4:5], v18, s4
	v_lshlrev_b32_e32 v1, 2, v22
	s_and_saveexec_b64 s[6:7], s[4:5]
	s_xor_b64 s[4:5], exec, s[6:7]
	s_cbranch_execz .LBB2_215
; %bb.214:
	v_add_u32_e32 v19, 0x1000, v1
	ds_read2_b32 v[20:21], v19 offset0:147 offset1:163
	v_max_f32_e32 v23, v18, v18
	s_mov_b32 s6, 0xff800000
	s_waitcnt lgkmcnt(0)
	v_max_f32_e32 v26, v21, v21
	v_max_f32_e32 v23, v26, v23
	v_sub_f32_e32 v26, v21, v23
	v_sub_f32_e32 v18, v18, v23
	v_mul_f32_e32 v26, 0x3fb8aa3b, v26
	v_exp_f32_e32 v26, v26
	v_mul_f32_e32 v18, 0x3fb8aa3b, v18
	v_exp_f32_e32 v18, v18
	v_cmp_neq_f32_e32 vcc, s6, v21
	s_nop 1
	v_cndmask_b32_e32 v21, 0, v26, vcc
	v_mul_f32_e32 v26, v20, v21
	v_fmac_f32_e32 v18, v20, v21
	v_div_scale_f32 v20, s[6:7], v18, v18, v26
	v_rcp_f32_e32 v21, v20
	v_div_scale_f32 v27, vcc, v26, v18, v26
	v_fma_f32 v28, -v20, v21, 1.0
	v_fmac_f32_e32 v21, v28, v21
	v_mul_f32_e32 v28, v27, v21
	v_fma_f32 v29, -v20, v28, v27
	v_fmac_f32_e32 v28, v29, v21
	v_fma_f32 v20, -v20, v28, v27
	v_div_fmas_f32 v20, v20, v21, v28
	v_div_fixup_f32 v20, v20, v18, v26
	v_cmp_lt_f32_e32 vcc, 0, v18
	s_nop 1
	v_cndmask_b32_e32 v20, 1.0, v20, vcc
	ds_write_b32 v1, v20 offset:4940
	ds_write2_b32 v19, v18, v23 offset0:147 offset1:163
                                        ; implicit-def: $vgpr1
.LBB2_215:
	s_andn2_saveexec_b64 s[4:5], s[4:5]
; %bb.216:
	v_mov_b32_e32 v18, 1.0
	ds_write_b32 v1, v18 offset:4940
.LBB2_217:
	s_or_b64 exec, exec, s[2:3]
	s_waitcnt lgkmcnt(0)
	s_barrier
	ds_read_b96 v[18:20], v24 offset:4928
	v_cmp_gt_u32_e32 vcc, 64, v0
	v_mov_b32_e32 v1, 1.0
	s_and_saveexec_b64 s[2:3], vcc
; %bb.218:
	v_lshl_or_b32 v1, v22, 2, 12
	ds_read_b32 v1, v1 offset:4928
; %bb.219:
	s_or_b64 exec, exec, s[2:3]
	s_waitcnt lgkmcnt(0)
	v_pk_mul_f32 v[10:11], v[10:11], v[18:19]
	v_pk_mul_f32 v[14:15], v[14:15], v[18:19]
	;; [unrolled: 1-line block ×4, first 2 shown]
	v_mul_f32_e32 v16, v16, v20
	v_mul_f32_e32 v4, v4, v20
	;; [unrolled: 1-line block ×8, first 2 shown]
.LBB2_220:
	s_lshl_b64 s[0:1], s[0:1], 2
	s_add_u32 s0, s38, s0
	v_or_b32_e32 v18, 48, v0
	s_addc_u32 s1, s39, s1
	v_mov_b32_e32 v1, 0
	v_cmp_gt_u32_e32 vcc, s41, v49
	v_lshlrev_b32_e32 v0, 2, v48
	v_lshlrev_b32_e32 v18, 2, v18
	s_and_saveexec_b64 s[2:3], vcc
	s_cbranch_execz .LBB2_224
; %bb.221:
	v_add_u32_e32 v20, s34, v49
	v_ashrrev_i32_e32 v21, 31, v20
	v_lshlrev_b64 v[20:21], 8, v[20:21]
	v_lshl_add_u64 v[20:21], s[0:1], 0, v[20:21]
	v_mov_b32_e32 v19, v1
	v_lshl_add_u64 v[22:23], v[20:21], 0, v[0:1]
	v_lshl_add_u64 v[20:21], v[20:21], 0, v[18:19]
	global_store_dword v[22:23], v14, off
	global_store_dword v[22:23], v2, off offset:64
	global_store_dword v[22:23], v6, off offset:128
	global_store_dword v[20:21], v10, off
	s_or_b64 exec, exec, s[2:3]
	v_cmp_gt_u32_e32 vcc, s33, v51
	s_and_saveexec_b64 s[2:3], vcc
	s_cbranch_execnz .LBB2_225
.LBB2_222:
	s_or_b64 exec, exec, s[2:3]
	v_cmp_gt_u32_e32 vcc, s33, v50
	s_and_saveexec_b64 s[2:3], vcc
	s_cbranch_execz .LBB2_226
.LBB2_223:
	v_add_u32_e32 v2, s34, v50
	v_ashrrev_i32_e32 v3, 31, v2
	v_lshlrev_b64 v[2:3], 8, v[2:3]
	v_mov_b32_e32 v1, 0
	v_lshl_add_u64 v[2:3], s[0:1], 0, v[2:3]
	v_mov_b32_e32 v19, v1
	v_lshl_add_u64 v[6:7], v[2:3], 0, v[0:1]
	v_lshl_add_u64 v[2:3], v[2:3], 0, v[18:19]
	global_store_dword v[6:7], v16, off
	global_store_dword v[6:7], v4, off offset:64
	global_store_dword v[6:7], v8, off offset:128
	global_store_dword v[2:3], v12, off
	s_or_b64 exec, exec, s[2:3]
	v_cmp_gt_u32_e32 vcc, s33, v25
	s_and_b64 exec, exec, vcc
	s_cbranch_execnz .LBB2_227
	s_branch .LBB2_228
.LBB2_224:
	s_or_b64 exec, exec, s[2:3]
	v_cmp_gt_u32_e32 vcc, s33, v51
	s_and_saveexec_b64 s[2:3], vcc
	s_cbranch_execz .LBB2_222
.LBB2_225:
	v_add_u32_e32 v20, s34, v51
	v_ashrrev_i32_e32 v21, 31, v20
	v_lshlrev_b64 v[20:21], 8, v[20:21]
	v_lshl_add_u64 v[20:21], s[0:1], 0, v[20:21]
	v_mov_b32_e32 v1, 0
	v_lshl_add_u64 v[22:23], v[20:21], 0, v[0:1]
	v_mov_b32_e32 v19, v1
	global_store_dword v[22:23], v15, off
	global_store_dword v[22:23], v3, off offset:64
	global_store_dword v[22:23], v7, off offset:128
	v_lshl_add_u64 v[2:3], v[20:21], 0, v[18:19]
	global_store_dword v[2:3], v11, off
	s_or_b64 exec, exec, s[2:3]
	v_cmp_gt_u32_e32 vcc, s33, v50
	s_and_saveexec_b64 s[2:3], vcc
	s_cbranch_execnz .LBB2_223
.LBB2_226:
	s_or_b64 exec, exec, s[2:3]
	v_cmp_gt_u32_e32 vcc, s33, v25
	s_and_b64 exec, exec, vcc
	s_cbranch_execz .LBB2_228
.LBB2_227:
	v_add_u32_e32 v2, s34, v25
	v_ashrrev_i32_e32 v3, 31, v2
	v_lshlrev_b64 v[2:3], 8, v[2:3]
	v_mov_b32_e32 v1, 0
	v_lshl_add_u64 v[2:3], s[0:1], 0, v[2:3]
	v_mov_b32_e32 v19, v1
	v_lshl_add_u64 v[6:7], v[2:3], 0, v[0:1]
	v_lshl_add_u64 v[0:1], v[2:3], 0, v[18:19]
	global_store_dword v[6:7], v17, off
	global_store_dword v[6:7], v5, off offset:64
	global_store_dword v[6:7], v9, off offset:128
	global_store_dword v[0:1], v13, off
.LBB2_228:
	s_endpgm
	.section	.rodata,"a",@progbits
	.p2align	6, 0x0
	.amdhsa_kernel _Z22fa2_decode_mfma_head64IfLb1ELi16ELi16EEvPKfPKvS3_S1_PK14__hip_bfloat16PfiiiiiiiiPKiS9_xPKxS9_S9_i
		.amdhsa_group_segment_fixed_size 4992
		.amdhsa_private_segment_fixed_size 0
		.amdhsa_kernarg_size 132
		.amdhsa_user_sgpr_count 2
		.amdhsa_user_sgpr_dispatch_ptr 0
		.amdhsa_user_sgpr_queue_ptr 0
		.amdhsa_user_sgpr_kernarg_segment_ptr 1
		.amdhsa_user_sgpr_dispatch_id 0
		.amdhsa_user_sgpr_kernarg_preload_length 0
		.amdhsa_user_sgpr_kernarg_preload_offset 0
		.amdhsa_user_sgpr_private_segment_size 0
		.amdhsa_uses_dynamic_stack 0
		.amdhsa_enable_private_segment 0
		.amdhsa_system_sgpr_workgroup_id_x 1
		.amdhsa_system_sgpr_workgroup_id_y 1
		.amdhsa_system_sgpr_workgroup_id_z 0
		.amdhsa_system_sgpr_workgroup_info 0
		.amdhsa_system_vgpr_workitem_id 0
		.amdhsa_next_free_vgpr 96
		.amdhsa_next_free_sgpr 76
		.amdhsa_accum_offset 96
		.amdhsa_reserve_vcc 1
		.amdhsa_float_round_mode_32 0
		.amdhsa_float_round_mode_16_64 0
		.amdhsa_float_denorm_mode_32 3
		.amdhsa_float_denorm_mode_16_64 3
		.amdhsa_dx10_clamp 1
		.amdhsa_ieee_mode 1
		.amdhsa_fp16_overflow 0
		.amdhsa_tg_split 0
		.amdhsa_exception_fp_ieee_invalid_op 0
		.amdhsa_exception_fp_denorm_src 0
		.amdhsa_exception_fp_ieee_div_zero 0
		.amdhsa_exception_fp_ieee_overflow 0
		.amdhsa_exception_fp_ieee_underflow 0
		.amdhsa_exception_fp_ieee_inexact 0
		.amdhsa_exception_int_div_zero 0
	.end_amdhsa_kernel
	.section	.text._Z22fa2_decode_mfma_head64IfLb1ELi16ELi16EEvPKfPKvS3_S1_PK14__hip_bfloat16PfiiiiiiiiPKiS9_xPKxS9_S9_i,"axG",@progbits,_Z22fa2_decode_mfma_head64IfLb1ELi16ELi16EEvPKfPKvS3_S1_PK14__hip_bfloat16PfiiiiiiiiPKiS9_xPKxS9_S9_i,comdat
.Lfunc_end2:
	.size	_Z22fa2_decode_mfma_head64IfLb1ELi16ELi16EEvPKfPKvS3_S1_PK14__hip_bfloat16PfiiiiiiiiPKiS9_xPKxS9_S9_i, .Lfunc_end2-_Z22fa2_decode_mfma_head64IfLb1ELi16ELi16EEvPKfPKvS3_S1_PK14__hip_bfloat16PfiiiiiiiiPKiS9_xPKxS9_S9_i
                                        ; -- End function
	.set _Z22fa2_decode_mfma_head64IfLb1ELi16ELi16EEvPKfPKvS3_S1_PK14__hip_bfloat16PfiiiiiiiiPKiS9_xPKxS9_S9_i.num_vgpr, 96
	.set _Z22fa2_decode_mfma_head64IfLb1ELi16ELi16EEvPKfPKvS3_S1_PK14__hip_bfloat16PfiiiiiiiiPKiS9_xPKxS9_S9_i.num_agpr, 0
	.set _Z22fa2_decode_mfma_head64IfLb1ELi16ELi16EEvPKfPKvS3_S1_PK14__hip_bfloat16PfiiiiiiiiPKiS9_xPKxS9_S9_i.numbered_sgpr, 76
	.set _Z22fa2_decode_mfma_head64IfLb1ELi16ELi16EEvPKfPKvS3_S1_PK14__hip_bfloat16PfiiiiiiiiPKiS9_xPKxS9_S9_i.num_named_barrier, 0
	.set _Z22fa2_decode_mfma_head64IfLb1ELi16ELi16EEvPKfPKvS3_S1_PK14__hip_bfloat16PfiiiiiiiiPKiS9_xPKxS9_S9_i.private_seg_size, 0
	.set _Z22fa2_decode_mfma_head64IfLb1ELi16ELi16EEvPKfPKvS3_S1_PK14__hip_bfloat16PfiiiiiiiiPKiS9_xPKxS9_S9_i.uses_vcc, 1
	.set _Z22fa2_decode_mfma_head64IfLb1ELi16ELi16EEvPKfPKvS3_S1_PK14__hip_bfloat16PfiiiiiiiiPKiS9_xPKxS9_S9_i.uses_flat_scratch, 0
	.set _Z22fa2_decode_mfma_head64IfLb1ELi16ELi16EEvPKfPKvS3_S1_PK14__hip_bfloat16PfiiiiiiiiPKiS9_xPKxS9_S9_i.has_dyn_sized_stack, 0
	.set _Z22fa2_decode_mfma_head64IfLb1ELi16ELi16EEvPKfPKvS3_S1_PK14__hip_bfloat16PfiiiiiiiiPKiS9_xPKxS9_S9_i.has_recursion, 0
	.set _Z22fa2_decode_mfma_head64IfLb1ELi16ELi16EEvPKfPKvS3_S1_PK14__hip_bfloat16PfiiiiiiiiPKiS9_xPKxS9_S9_i.has_indirect_call, 0
	.section	.AMDGPU.csdata,"",@progbits
; Kernel info:
; codeLenInByte = 9748
; TotalNumSgprs: 82
; NumVgprs: 96
; NumAgprs: 0
; TotalNumVgprs: 96
; ScratchSize: 0
; MemoryBound: 0
; FloatMode: 240
; IeeeMode: 1
; LDSByteSize: 4992 bytes/workgroup (compile time only)
; SGPRBlocks: 10
; VGPRBlocks: 11
; NumSGPRsForWavesPerEU: 82
; NumVGPRsForWavesPerEU: 96
; AccumOffset: 96
; Occupancy: 5
; WaveLimiterHint : 1
; COMPUTE_PGM_RSRC2:SCRATCH_EN: 0
; COMPUTE_PGM_RSRC2:USER_SGPR: 2
; COMPUTE_PGM_RSRC2:TRAP_HANDLER: 0
; COMPUTE_PGM_RSRC2:TGID_X_EN: 1
; COMPUTE_PGM_RSRC2:TGID_Y_EN: 1
; COMPUTE_PGM_RSRC2:TGID_Z_EN: 0
; COMPUTE_PGM_RSRC2:TIDIG_COMP_CNT: 0
; COMPUTE_PGM_RSRC3_GFX90A:ACCUM_OFFSET: 23
; COMPUTE_PGM_RSRC3_GFX90A:TG_SPLIT: 0
	.section	.text._Z22fa2_decode_mfma_head64IfLb0ELi16ELi16EEvPKfPKvS3_S1_PK14__hip_bfloat16PfiiiiiiiiPKiS9_xPKxS9_S9_i,"axG",@progbits,_Z22fa2_decode_mfma_head64IfLb0ELi16ELi16EEvPKfPKvS3_S1_PK14__hip_bfloat16PfiiiiiiiiPKiS9_xPKxS9_S9_i,comdat
	.protected	_Z22fa2_decode_mfma_head64IfLb0ELi16ELi16EEvPKfPKvS3_S1_PK14__hip_bfloat16PfiiiiiiiiPKiS9_xPKxS9_S9_i ; -- Begin function _Z22fa2_decode_mfma_head64IfLb0ELi16ELi16EEvPKfPKvS3_S1_PK14__hip_bfloat16PfiiiiiiiiPKiS9_xPKxS9_S9_i
	.globl	_Z22fa2_decode_mfma_head64IfLb0ELi16ELi16EEvPKfPKvS3_S1_PK14__hip_bfloat16PfiiiiiiiiPKiS9_xPKxS9_S9_i
	.p2align	8
	.type	_Z22fa2_decode_mfma_head64IfLb0ELi16ELi16EEvPKfPKvS3_S1_PK14__hip_bfloat16PfiiiiiiiiPKiS9_xPKxS9_S9_i,@function
_Z22fa2_decode_mfma_head64IfLb0ELi16ELi16EEvPKfPKvS3_S1_PK14__hip_bfloat16PfiiiiiiiiPKiS9_xPKxS9_S9_i: ; @_Z22fa2_decode_mfma_head64IfLb0ELi16ELi16EEvPKfPKvS3_S1_PK14__hip_bfloat16PfiiiiiiiiPKiS9_xPKxS9_S9_i
; %bb.0:
	s_mov_b32 s14, s3
	s_load_dword s3, s[0:1], 0x30
	s_load_dwordx2 s[48:49], s[0:1], 0x3c
	v_cmp_gt_u32_e32 vcc, 64, v0
	s_waitcnt lgkmcnt(0)
	s_cmp_lt_i32 s14, s3
	s_cselect_b64 s[4:5], -1, 0
	s_and_b64 s[4:5], vcc, s[4:5]
	s_cmp_gt_i32 s49, 0
	s_cselect_b64 s[6:7], -1, 0
	s_and_b64 s[4:5], s[4:5], s[6:7]
	s_and_saveexec_b64 s[6:7], s[4:5]
	s_cbranch_execz .LBB3_204
; %bb.1:
	s_load_dwordx2 s[16:17], s[0:1], 0x48
	s_mul_i32 s42, s49, s2
	s_waitcnt lgkmcnt(0)
	s_cmp_ge_i32 s42, s17
	s_cbranch_scc1 .LBB3_204
; %bb.2:
	s_load_dwordx4 s[8:11], s[0:1], 0x50
	s_load_dwordx2 s[6:7], s[0:1], 0x78
	s_load_dwordx4 s[20:23], s[0:1], 0x68
	s_load_dwordx2 s[18:19], s[0:1], 0x0
	s_ashr_i32 s15, s14, 31
	s_lshl_b64 s[24:25], s[14:15], 2
	s_waitcnt lgkmcnt(0)
	s_add_u32 s4, s8, s24
	s_addc_u32 s5, s9, s25
	s_ashr_i32 s9, s16, 31
	s_mov_b32 s8, s16
	s_lshl_b64 s[12:13], s[8:9], 2
	s_add_u32 s6, s6, s12
	s_addc_u32 s7, s7, s13
	s_lshl_b64 s[8:9], s[8:9], 3
	s_add_u32 s8, s20, s8
	s_addc_u32 s9, s21, s9
	s_add_u32 s12, s22, s12
	s_addc_u32 s13, s23, s13
	;; [unrolled: 2-line block ×3, first 2 shown]
	v_cmp_gt_u32_e64 s[40:41], 16, v0
	v_lshlrev_b32_e32 v2, 2, v0
	s_and_saveexec_b64 s[20:21], s[40:41]
; %bb.3:
	v_mov_b32_e32 v1, 0xff800000
	v_mov_b32_e32 v3, 0
	v_add_u32_e32 v4, 0x1000, v2
	ds_write2_b32 v4, v3, v1 offset0:144 offset1:160
; %bb.4:
	s_or_b64 exec, exec, s[20:21]
	s_mul_hi_i32 s51, s14, s17
	s_mul_i32 s50, s14, s17
	v_and_b32_e32 v46, 15, v0
	s_lshl_b64 s[14:15], s[50:51], 8
	v_rsq_f32_e32 v4, 0x42800000
	v_add_u32_e32 v6, s42, v46
	s_add_u32 s14, s18, s14
	v_ashrrev_i32_e32 v7, 31, v6
	v_lshrrev_b32_e32 v22, 2, v0
	s_addc_u32 s15, s19, s15
	v_lshlrev_b64 v[6:7], 8, v[6:7]
	v_and_b32_e32 v47, 12, v22
	v_cmp_gt_u32_e64 s[38:39], s49, v46
	v_lshl_add_u64 v[6:7], s[14:15], 0, v[6:7]
	v_mov_b32_e32 v26, 0
	v_lshlrev_b32_e32 v24, 2, v47
	v_mov_b32_e32 v28, 0
	v_mov_b32_e32 v29, 0
	s_waitcnt lgkmcnt(0)
	s_barrier
	s_and_saveexec_b64 s[14:15], s[38:39]
	s_cbranch_execz .LBB3_6
; %bb.5:
	v_mov_b32_e32 v25, 0
	v_lshl_add_u64 v[8:9], v[6:7], 0, v[24:25]
	v_lshl_or_b32 v12, v22, 2, 12
	v_mov_b32_e32 v13, v25
	global_load_dwordx3 v[8:10], v[8:9], off
	v_lshl_add_u64 v[12:13], v[6:7], 0, v[12:13]
	global_load_dword v11, v[12:13], off
	s_waitcnt vmcnt(1)
	v_pk_mul_f32 v[8:9], v[4:5], v[8:9] op_sel_hi:[0,1]
	v_cvt_pk_bf16_f32 v28, v8, v9
	s_waitcnt vmcnt(0)
	v_pk_mul_f32 v[8:9], v[4:5], v[10:11] op_sel_hi:[0,1]
	v_cvt_pk_bf16_f32 v29, v8, v9
.LBB3_6:
	s_or_b64 exec, exec, s[14:15]
	v_mov_b32_e32 v27, 0
	s_and_saveexec_b64 s[14:15], s[38:39]
	s_cbranch_execz .LBB3_8
; %bb.7:
	v_mov_b32_e32 v25, 0
	v_mov_b32_e32 v1, 0x4c
	v_lshl_add_u64 v[8:9], v[6:7], 0, v[24:25]
	v_lshl_or_b32 v12, v22, 2, v1
	v_mov_b32_e32 v13, v25
	global_load_dwordx3 v[8:10], v[8:9], off offset:64
	v_lshl_add_u64 v[12:13], v[6:7], 0, v[12:13]
	global_load_dword v11, v[12:13], off
	s_waitcnt vmcnt(1)
	v_pk_mul_f32 v[8:9], v[4:5], v[8:9] op_sel_hi:[0,1]
	v_cvt_pk_bf16_f32 v26, v8, v9
	s_waitcnt vmcnt(0)
	v_pk_mul_f32 v[8:9], v[4:5], v[10:11] op_sel_hi:[0,1]
	v_cvt_pk_bf16_f32 v27, v8, v9
.LBB3_8:
	s_or_b64 exec, exec, s[14:15]
	v_mov_b32_e32 v30, 0
	v_mov_b32_e32 v32, 0
	;; [unrolled: 1-line block ×3, first 2 shown]
	s_and_saveexec_b64 s[14:15], s[38:39]
	s_cbranch_execz .LBB3_10
; %bb.9:
	v_mov_b32_e32 v25, 0
	v_mov_b32_e32 v1, 0x8c
	v_lshl_add_u64 v[8:9], v[6:7], 0, v[24:25]
	v_lshl_or_b32 v12, v22, 2, v1
	v_mov_b32_e32 v13, v25
	global_load_dwordx3 v[8:10], v[8:9], off offset:128
	v_lshl_add_u64 v[12:13], v[6:7], 0, v[12:13]
	global_load_dword v11, v[12:13], off
	s_waitcnt vmcnt(1)
	v_pk_mul_f32 v[8:9], v[4:5], v[8:9] op_sel_hi:[0,1]
	v_cvt_pk_bf16_f32 v32, v8, v9
	s_waitcnt vmcnt(0)
	v_pk_mul_f32 v[8:9], v[4:5], v[10:11] op_sel_hi:[0,1]
	v_cvt_pk_bf16_f32 v33, v8, v9
.LBB3_10:
	s_or_b64 exec, exec, s[14:15]
	s_load_dword s43, s[4:5], 0x0
	s_load_dword s3, s[6:7], 0x0
	;; [unrolled: 1-line block ×3, first 2 shown]
	v_mov_b32_e32 v31, 0
	s_and_saveexec_b64 s[4:5], s[38:39]
	s_cbranch_execz .LBB3_12
; %bb.11:
	v_mov_b32_e32 v25, 0
	v_mov_b32_e32 v1, 0xcc
	v_lshl_add_u64 v[8:9], v[6:7], 0, v[24:25]
	v_lshl_or_b32 v12, v22, 2, v1
	v_mov_b32_e32 v13, v25
	global_load_dwordx3 v[8:10], v[8:9], off offset:192
	v_lshl_add_u64 v[6:7], v[6:7], 0, v[12:13]
	global_load_dword v7, v[6:7], off
	s_waitcnt vmcnt(1)
	v_mov_b32_e32 v6, v10
	v_pk_mul_f32 v[8:9], v[4:5], v[8:9] op_sel_hi:[0,1]
	s_waitcnt vmcnt(0)
	v_pk_mul_f32 v[4:5], v[4:5], v[6:7] op_sel_hi:[0,1]
	v_cvt_pk_bf16_f32 v30, v8, v9
	v_cvt_pk_bf16_f32 v31, v4, v5
.LBB3_12:
	s_or_b64 exec, exec, s[4:5]
	s_waitcnt lgkmcnt(0)
	s_sub_i32 s4, s43, s62
	s_max_i32 s4, s4, -1
	s_add_i32 s6, s4, 1
	s_load_dwordx4 s[44:47], s[0:1], 0x20
	s_cmp_lg_u32 s3, 0
	s_cselect_b64 s[52:53], -1, 0
	s_and_b64 s[4:5], s[52:53], exec
	s_cselect_b32 s63, s6, 0
	s_min_u32 s33, s49, 16
	s_mov_b32 s64, 0
	s_cmp_le_i32 s63, s43
	v_cmp_gt_u32_e64 s[4:5], s49, v47
	v_cmp_eq_u32_e64 s[6:7], 0, v46
	v_or_b32_e32 v49, 1, v47
	v_or_b32_e32 v48, 2, v47
	;; [unrolled: 1-line block ×3, first 2 shown]
	s_cbranch_scc0 .LBB3_156
; %bb.13:
	s_load_dword s3, s[0:1], 0x80
	s_load_dwordx4 s[12:15], s[0:1], 0x8
	s_load_dwordx2 s[16:17], s[8:9], 0x0
	s_load_dword s18, s[10:11], 0x0
	s_mul_i32 s9, s62, s48
	s_waitcnt lgkmcnt(0)
	s_add_i32 s0, s3, -1
	s_cmp_lt_u32 s0, 16
	s_cselect_b32 s65, s3, 16
	s_add_i32 s67, s62, -1
	s_add_i32 s66, s43, 1
	s_and_b32 s0, s62, s67
	s_cmp_lg_u32 s0, 0
	s_cselect_b64 s[54:55], -1, 0
	s_ashr_i32 s3, s18, 31
	s_mul_hi_i32 s8, s62, s48
	s_mul_i32 s3, s9, s3
	s_mul_hi_u32 s10, s9, s18
	s_add_i32 s3, s10, s3
	s_mul_i32 s8, s8, s18
	v_mbcnt_lo_u32_b32 v3, -1, 0
	s_ashr_i32 s1, s48, 31
	s_add_i32 s3, s3, s8
	s_mul_i32 s9, s9, s18
	v_mbcnt_hi_u32_b32 v4, -1, v3
	s_add_u32 s8, s9, s16
	v_lshlrev_b32_e32 v3, 2, v4
	s_addc_u32 s9, s3, s17
	v_and_b32_e32 v51, 0x1c0, v3
	v_mov_b32_e32 v3, 0x1000
	s_lshl_b64 s[8:9], s[8:9], 2
	v_lshl_or_b32 v7, v46, 1, v3
	v_mov_b32_e32 v3, 0x800
	s_add_u32 s10, s12, s8
	v_lshl_or_b32 v3, v46, 5, v3
	v_lshlrev_b32_e32 v9, 1, v47
	v_lshlrev_b32_e32 v10, 1, v25
	;; [unrolled: 1-line block ×3, first 2 shown]
	s_addc_u32 s11, s13, s9
	v_or_b32_e32 v52, v3, v9
	v_add_u32_e32 v53, v3, v10
	v_or_b32_e32 v3, 0x600, v11
	s_add_u32 s8, s14, s8
	v_add_u32_e32 v3, 0x800, v3
	v_mov_b32_e32 v34, 0
	s_addc_u32 s9, s15, s9
	v_or_b32_e32 v54, v3, v9
	v_add_u32_e32 v55, v3, v10
	v_mov_b32_e32 v3, v34
	v_lshl_add_u64 v[36:37], s[10:11], 0, v[2:3]
	v_lshl_add_u64 v[38:39], s[8:9], 0, v[2:3]
	v_lshlrev_b32_e32 v2, 1, v22
	v_lshlrev_b32_e32 v1, 7, v46
	v_or_b32_e32 v3, 38, v2
	v_bitop3_b32 v6, v4, 15, v4 bitop3:0xc
	v_add_u32_e32 v59, v1, v3
	v_or_b32_e32 v3, 0x46, v2
	v_or_b32_e32 v2, 0x66, v2
	;; [unrolled: 1-line block ×3, first 2 shown]
	v_add_u32_e32 v58, v1, v10
	v_add_u32_e32 v60, v1, v3
	;; [unrolled: 1-line block ×3, first 2 shown]
	v_bitop3_b32 v1, v4, 8, 15 bitop3:8
	v_cmp_gt_u32_e32 vcc, 4, v6
	v_and_b32_e32 v5, 15, v4
	v_add_lshl_u32 v62, v1, v4, 2
	v_cndmask_b32_e64 v1, 4, 0, vcc
	v_cmp_gt_u32_e32 vcc, 2, v6
	v_add_lshl_u32 v63, v1, v4, 2
	s_mov_b32 s0, s48
	v_cndmask_b32_e64 v1, 2, 0, vcc
	v_cmp_ne_u32_e32 vcc, 15, v5
	v_add_lshl_u32 v64, v1, v4, 2
	s_abs_i32 s48, s62
	v_addc_co_u32_e32 v1, vcc, 0, v4, vcc
	v_lshlrev_b32_e32 v65, 2, v1
	v_lshlrev_b32_e32 v1, 2, v25
	v_add_u32_e32 v66, 0x1200, v1
	v_add_u32_e32 v67, 0x1280, v1
	;; [unrolled: 1-line block ×5, first 2 shown]
	v_cvt_f32_u32_e32 v1, s48
	s_lshl_b64 s[58:59], s[0:1], 2
	s_movk_i32 s0, 0x100
	v_cmp_gt_u32_e64 s[8:9], s0, v0
	v_rcp_iflag_f32_e32 v1, v1
	s_sub_i32 s0, 0, s48
	s_ashr_i32 s3, s2, 31
	s_lshl_b64 s[56:57], s[2:3], 8
	v_mul_f32_e32 v1, 0x4f7ffffe, v1
	v_cvt_u32_f32_e32 v2, v1
	v_mov_b32_e32 v23, 0x12c0
	v_mad_u32_u24 v8, v46, 30, v7
	v_lshl_or_b32 v50, v46, 2, v23
	v_mul_lo_u32 v3, s0, v2
	v_mul_hi_u32 v3, v2, v3
	v_add_u32_e32 v56, 0x800, v11
	v_cmp_le_u32_e64 s[10:11], s49, v47
	v_cmp_le_u32_e64 s[12:13], s33, v49
	v_cmp_gt_u32_e64 s[14:15], s33, v49
	v_cmp_le_u32_e64 s[16:17], s33, v48
	v_cmp_gt_u32_e64 s[18:19], s33, v48
	;; [unrolled: 2-line block ×3, first 2 shown]
	v_cmp_gt_u32_e64 s[24:25], 64, v0
	v_lshl_or_b32 v71, v47, 5, v7
	v_lshl_add_u32 v72, v25, 5, v7
	v_add_u32_e32 v73, v8, v9
	v_add_u32_e32 v74, v8, v10
	s_mov_b32 s68, s58
	s_mov_b32 s69, s59
	;; [unrolled: 1-line block ×4, first 2 shown]
	v_or_b32_e32 v1, 64, v0
	v_add_u32_e32 v75, v2, v3
	s_sub_i32 s70, s66, s63
	s_mov_b32 s71, 0x5040100
	s_mov_b32 s72, 0xff800000
	;; [unrolled: 1-line block ×4, first 2 shown]
	v_mov_b32_e32 v14, 0
	v_mov_b32_e32 v15, v34
	;; [unrolled: 1-line block ×16, first 2 shown]
	v_lshlrev_b32_e32 v76, 1, v0
	v_or_b32_e32 v77, 0x1200, v24
	v_or_b32_e32 v78, 0x1280, v24
	v_or_b32_e32 v79, 0x1300, v24
	v_or_b32_e32 v80, 0x1340, v24
	v_or_b32_e32 v81, 0x1240, v24
	v_mov_b32_e32 v82, 0xff800000
	s_branch .LBB3_15
.LBB3_14:                               ;   in Loop: Header=BB3_15 Depth=1
	s_or_b64 exec, exec, s[0:1]
	v_mul_f32_e32 v14, v14, v84
	v_mul_f32_e32 v2, v2, v84
	;; [unrolled: 1-line block ×16, first 2 shown]
	v_mfma_f32_16x16x16_bf16 v[14:17], v[18:19], v[20:21], v[14:17]
	s_add_i32 s74, s74, s65
	s_add_i32 s64, s64, 1
	s_sub_i32 s70, s70, s65
	v_mfma_f32_16x16x16_bf16 v[2:5], v[18:19], v[40:41], v[2:5]
	s_cmp_gt_i32 s74, s43
	s_barrier
	v_mfma_f32_16x16x16_bf16 v[6:9], v[18:19], v[42:43], v[6:9]
	v_mfma_f32_16x16x16_bf16 v[10:13], v[18:19], v[44:45], v[10:13]
	s_cbranch_scc1 .LBB3_157
.LBB3_15:                               ; =>This Loop Header: Depth=1
                                        ;     Child Loop BB3_23 Depth 2
                                        ;     Child Loop BB3_29 Depth 2
	s_sub_i32 s0, s66, s74
	s_min_i32 s75, s0, s65
	v_cmp_le_u32_e64 s[28:29], s75, v46
	v_cmp_gt_u32_e64 s[26:27], s75, v46
	s_mov_b64 s[2:3], 0
                                        ; implicit-def: $vgpr18
	s_and_saveexec_b64 s[0:1], s[26:27]
	s_xor_b64 s[0:1], exec, s[0:1]
	s_cbranch_execnz .LBB3_68
; %bb.16:                               ;   in Loop: Header=BB3_15 Depth=1
	s_andn2_saveexec_b64 s[0:1], s[0:1]
	s_cbranch_execnz .LBB3_77
.LBB3_17:                               ;   in Loop: Header=BB3_15 Depth=1
	s_or_b64 exec, exec, s[0:1]
	s_and_saveexec_b64 s[0:1], s[2:3]
.LBB3_18:                               ;   in Loop: Header=BB3_15 Depth=1
	ds_write_b32 v50, v18
.LBB3_19:                               ;   in Loop: Header=BB3_15 Depth=1
	s_or_b64 exec, exec, s[0:1]
	s_min_u32 s76, s75, 16
	s_lshl_b32 s30, s76, 6
	v_cmp_gt_u32_e32 vcc, s30, v0
	s_waitcnt lgkmcnt(0)
	s_barrier
	s_and_saveexec_b64 s[0:1], vcc
	s_cbranch_execz .LBB3_30
; %bb.20:                               ;   in Loop: Header=BB3_15 Depth=1
	s_mul_i32 s2, s65, s64
	s_add_i32 s2, s63, s2
	s_sub_i32 s2, s66, s2
	s_min_i32 s31, s65, s2
	s_mov_b64 s[2:3], -1
	s_cmp_eq_u32 s31, 1
	v_mov_b32_e32 v18, v0
	s_cbranch_scc1 .LBB3_27
; %bb.21:                               ;   in Loop: Header=BB3_15 Depth=1
	s_min_u32 s2, s31, 16
	s_add_i32 s2, s2, -1
	s_and_b32 s2, s2, 0x3ffffff
	s_add_i32 s3, s2, -1
	s_cmp_lt_u32 s3, 2
	v_mov_b64_e32 v[18:19], v[0:1]
	s_cbranch_scc1 .LBB3_24
; %bb.22:                               ;   in Loop: Header=BB3_15 Depth=1
	s_min_i32 s31, s65, s70
	s_min_u32 s31, s31, 16
	s_add_i32 s31, s31, -1
	s_and_b32 s31, s31, 0x3ffffff
	s_add_i32 s31, s31, -1
	s_lshr_b32 s31, s31, 1
	s_add_i32 s31, s31, 1
	s_and_b32 s31, s31, -2
	v_mov_b64_e32 v[18:19], v[0:1]
.LBB3_23:                               ;   Parent Loop BB3_15 Depth=1
                                        ; =>  This Inner Loop Header: Depth=2
	v_lshrrev_b32_e32 v35, 6, v18
	v_add_u32_e32 v42, 0x80, v18
	v_lshl_add_u32 v43, v35, 2, v23
	v_lshrrev_b32_e32 v83, 6, v42
	ds_read2_b32 v[42:43], v43 offset1:1
	v_lshl_add_u32 v44, v83, 2, v23
	ds_read2_b32 v[44:45], v44 offset1:1
	v_mov_b64_e32 v[20:21], s[60:61]
	v_mov_b64_e32 v[40:41], s[56:57]
	s_waitcnt lgkmcnt(1)
	v_ashrrev_i32_e32 v88, 31, v42
	v_ashrrev_i32_e32 v89, 31, v43
	v_mad_u64_u32 v[84:85], s[34:35], s68, v43, v[20:21]
	v_mul_lo_u32 v43, s69, v43
	v_mad_u64_u32 v[86:87], s[34:35], s58, v42, v[40:41]
	v_mul_lo_u32 v42, s59, v42
	v_mul_lo_u32 v89, s68, v89
	;; [unrolled: 1-line block ×3, first 2 shown]
	s_waitcnt lgkmcnt(0)
	v_ashrrev_i32_e32 v90, 31, v44
	v_ashrrev_i32_e32 v91, 31, v45
	v_mad_u64_u32 v[20:21], s[34:35], s68, v45, v[20:21]
	v_mul_lo_u32 v92, s69, v45
	v_mad_u64_u32 v[40:41], s[34:35], s58, v44, v[40:41]
	v_mul_lo_u32 v93, s59, v44
	v_add3_u32 v85, v43, v85, v89
	v_add3_u32 v87, v42, v87, v88
	v_mul_lo_u32 v88, s68, v91
	v_mul_lo_u32 v89, s58, v90
	v_lshl_add_u64 v[42:43], v[36:37], 0, v[86:87]
	v_lshl_add_u64 v[44:45], v[36:37], 0, v[84:85]
	;; [unrolled: 1-line block ×4, first 2 shown]
	v_add3_u32 v21, v92, v21, v88
	v_add3_u32 v41, v93, v41, v89
	global_load_dword v88, v[42:43], off
	global_load_dword v89, v[44:45], off
	s_nop 0
	global_load_dword v86, v[86:87], off
	s_nop 0
	global_load_dword v84, v[84:85], off
	v_lshl_add_u64 v[42:43], v[36:37], 0, v[40:41]
	v_lshl_add_u64 v[44:45], v[36:37], 0, v[20:21]
	;; [unrolled: 1-line block ×4, first 2 shown]
	global_load_dword v42, v[42:43], off
	s_nop 0
	global_load_dword v43, v[44:45], off
	s_nop 0
	;; [unrolled: 2-line block ×3, first 2 shown]
	global_load_dword v20, v[20:21], off
	v_lshlrev_b32_e32 v21, 1, v19
	s_add_i32 s31, s31, -2
	v_lshl_add_u32 v41, v35, 7, v76
	v_and_b32_e32 v44, 0xffffff80, v21
	v_lshl_add_u32 v35, v35, 1, v56
	v_add_u32_e32 v21, 0x100, v21
	v_add_u32_e32 v19, 0x100, v19
	;; [unrolled: 1-line block ×3, first 2 shown]
	s_cmp_lg_u32 s31, 0
	v_add_u32_e32 v44, v76, v44
	v_lshl_add_u32 v45, v83, 7, v76
	v_and_b32_e32 v21, 0xffffff80, v21
	v_lshl_add_u32 v83, v83, 1, v56
	v_add_u32_e32 v21, v76, v21
	s_waitcnt vmcnt(6)
	v_cvt_pk_bf16_f32 v85, v88, v89
	s_waitcnt vmcnt(4)
	v_cvt_pk_bf16_f32 v84, v86, v84
	ds_write_b16 v41, v85
	ds_write_b16_d16_hi v44, v85
	ds_write_b32 v35, v84
	s_waitcnt vmcnt(2)
	v_cvt_pk_bf16_f32 v35, v42, v43
	s_waitcnt vmcnt(0)
	v_cvt_pk_bf16_f32 v20, v40, v20
	ds_write_b16 v45, v35
	ds_write_b16_d16_hi v21, v35
	ds_write_b32 v83, v20
	s_cbranch_scc1 .LBB3_23
.LBB3_24:                               ;   in Loop: Header=BB3_15 Depth=1
	s_bitcmp1_b32 s3, 1
	s_cbranch_scc1 .LBB3_26
; %bb.25:                               ;   in Loop: Header=BB3_15 Depth=1
	v_lshrrev_b32_e32 v18, 6, v18
	v_lshl_add_u32 v20, v18, 2, v23
	ds_read2_b32 v[20:21], v20 offset1:1
	v_mov_b32_e32 v40, s60
	v_mov_b32_e32 v41, s61
	;; [unrolled: 1-line block ×3, first 2 shown]
	v_lshlrev_b32_e32 v19, 1, v19
	s_waitcnt lgkmcnt(0)
	v_ashrrev_i32_e32 v42, 31, v21
	v_mul_lo_u32 v42, s68, v42
	v_mad_u64_u32 v[40:41], s[34:35], s68, v21, v[40:41]
	v_mul_lo_u32 v21, s69, v21
	v_ashrrev_i32_e32 v35, 31, v20
	v_add3_u32 v41, v21, v41, v42
	v_mov_b32_e32 v42, s56
	v_mul_lo_u32 v21, s58, v35
	v_mad_u64_u32 v[42:43], s[34:35], s58, v20, v[42:43]
	v_mul_lo_u32 v20, s59, v20
	v_add3_u32 v43, v20, v43, v21
	v_lshl_add_u64 v[20:21], v[36:37], 0, v[42:43]
	v_lshl_add_u64 v[44:45], v[36:37], 0, v[40:41]
	global_load_dword v35, v[20:21], off
	s_nop 0
	global_load_dword v44, v[44:45], off
	v_lshl_add_u64 v[20:21], v[38:39], 0, v[42:43]
	v_lshl_add_u64 v[40:41], v[38:39], 0, v[40:41]
	global_load_dword v20, v[20:21], off
	s_nop 0
	global_load_dword v21, v[40:41], off
	v_lshl_add_u32 v40, v18, 7, v76
	v_and_b32_e32 v19, 0xffffff80, v19
	v_lshl_add_u32 v18, v18, 1, v56
	v_add_u32_e32 v19, v76, v19
	s_waitcnt vmcnt(2)
	v_cvt_pk_bf16_f32 v35, v35, v44
	s_waitcnt vmcnt(0)
	v_cvt_pk_bf16_f32 v20, v20, v21
	ds_write_b16 v40, v35
	ds_write_b16_d16_hi v19, v35
	ds_write_b32 v18, v20
.LBB3_26:                               ;   in Loop: Header=BB3_15 Depth=1
	s_add_i32 s2, s2, 1
	s_and_b32 s3, s2, 0x7fffffe
	s_cmp_lg_u32 s2, s3
	v_lshl_or_b32 v18, s3, 6, v0
	s_cselect_b64 s[2:3], -1, 0
.LBB3_27:                               ;   in Loop: Header=BB3_15 Depth=1
	s_and_b64 vcc, exec, s[2:3]
	s_cbranch_vccz .LBB3_30
; %bb.28:                               ;   in Loop: Header=BB3_15 Depth=1
	v_lshrrev_b32_e32 v21, 6, v18
	v_lshl_add_u32 v19, v21, 7, v76
	v_lshl_add_u32 v20, v21, 1, v56
	;; [unrolled: 1-line block ×3, first 2 shown]
	s_mov_b64 s[2:3], 0
.LBB3_29:                               ;   Parent Loop BB3_15 Depth=1
                                        ; =>  This Inner Loop Header: Depth=2
	ds_read_b32 v35, v21
	v_mov_b64_e32 v[40:41], s[56:57]
	v_add_u32_e32 v18, 64, v18
	v_cmp_le_u32_e32 vcc, s30, v18
	v_add_u32_e32 v21, 4, v21
	s_waitcnt lgkmcnt(0)
	v_ashrrev_i32_e32 v42, 31, v35
	v_mad_u64_u32 v[40:41], s[34:35], s58, v35, v[40:41]
	v_mul_lo_u32 v35, s59, v35
	v_mul_lo_u32 v42, s58, v42
	v_add3_u32 v41, v35, v41, v42
	v_lshl_add_u64 v[42:43], v[36:37], 0, v[40:41]
	v_lshl_add_u64 v[40:41], v[38:39], 0, v[40:41]
	global_load_dword v35, v[42:43], off
	s_nop 0
	global_load_dword v40, v[40:41], off
	s_or_b64 s[2:3], vcc, s[2:3]
	s_waitcnt vmcnt(1)
	v_cvt_pk_bf16_f32 v35, v35, s0
	s_waitcnt vmcnt(0)
	v_cvt_pk_bf16_f32 v40, v40, s0
	ds_write_b16 v19, v35
	ds_write_b16 v20, v40
	v_add_u32_e32 v19, 0x80, v19
	v_add_u32_e32 v20, 2, v20
	s_andn2_b64 exec, exec, s[2:3]
	s_cbranch_execnz .LBB3_29
.LBB3_30:                               ;   in Loop: Header=BB3_15 Depth=1
	s_or_b64 exec, exec, s[0:1]
	v_mov_b32_e32 v40, 0
	v_mov_b32_e32 v18, 0
	v_mov_b32_e32 v19, 0
	s_waitcnt lgkmcnt(0)
	s_barrier
	s_and_saveexec_b64 s[0:1], s[26:27]
	s_cbranch_execz .LBB3_34
; %bb.31:                               ;   in Loop: Header=BB3_15 Depth=1
	ds_read_u16 v19, v57 offset:4
	ds_read_b32 v18, v57
	s_waitcnt lgkmcnt(1)
	v_and_b32_e32 v19, 0xffff, v19
	s_and_saveexec_b64 s[2:3], s[8:9]
	s_cbranch_execz .LBB3_33
; %bb.32:                               ;   in Loop: Header=BB3_15 Depth=1
	ds_read_u16 v20, v58
	s_waitcnt lgkmcnt(0)
	v_perm_b32 v19, v20, v19, s71
.LBB3_33:                               ;   in Loop: Header=BB3_15 Depth=1
	s_or_b64 exec, exec, s[2:3]
.LBB3_34:                               ;   in Loop: Header=BB3_15 Depth=1
	s_or_b64 exec, exec, s[0:1]
	s_waitcnt lgkmcnt(0)
	v_mfma_f32_16x16x16_bf16 v[18:21], v[28:29], v[18:19], 0
	v_mov_b32_e32 v41, 0
	s_and_saveexec_b64 s[0:1], s[26:27]
	s_cbranch_execz .LBB3_38
; %bb.35:                               ;   in Loop: Header=BB3_15 Depth=1
	ds_read_u16 v35, v57 offset:36
	ds_read_b32 v40, v57 offset:32
	s_waitcnt lgkmcnt(1)
	v_and_b32_e32 v41, 0xffff, v35
	s_and_saveexec_b64 s[2:3], s[8:9]
	s_cbranch_execz .LBB3_37
; %bb.36:                               ;   in Loop: Header=BB3_15 Depth=1
	ds_read_u16 v35, v59
	s_waitcnt lgkmcnt(0)
	v_perm_b32 v41, v35, v41, s71
.LBB3_37:                               ;   in Loop: Header=BB3_15 Depth=1
	s_or_b64 exec, exec, s[2:3]
.LBB3_38:                               ;   in Loop: Header=BB3_15 Depth=1
	s_or_b64 exec, exec, s[0:1]
	s_waitcnt lgkmcnt(0)
	v_mfma_f32_16x16x16_bf16 v[18:21], v[26:27], v[40:41], v[18:21]
	v_mov_b32_e32 v42, 0
	v_mov_b32_e32 v44, 0
	;; [unrolled: 1-line block ×3, first 2 shown]
	s_and_saveexec_b64 s[0:1], s[26:27]
	s_cbranch_execz .LBB3_42
; %bb.39:                               ;   in Loop: Header=BB3_15 Depth=1
	ds_read_u16 v35, v57 offset:68
	ds_read_b32 v44, v57 offset:64
	s_waitcnt lgkmcnt(1)
	v_and_b32_e32 v45, 0xffff, v35
	s_and_saveexec_b64 s[2:3], s[8:9]
	s_cbranch_execz .LBB3_41
; %bb.40:                               ;   in Loop: Header=BB3_15 Depth=1
	ds_read_u16 v35, v60
	s_waitcnt lgkmcnt(0)
	v_perm_b32 v45, v35, v45, s71
.LBB3_41:                               ;   in Loop: Header=BB3_15 Depth=1
	s_or_b64 exec, exec, s[2:3]
.LBB3_42:                               ;   in Loop: Header=BB3_15 Depth=1
	s_or_b64 exec, exec, s[0:1]
	s_waitcnt lgkmcnt(0)
	v_mfma_f32_16x16x16_bf16 v[18:21], v[32:33], v[44:45], v[18:21]
	v_mov_b32_e32 v43, 0
	s_and_saveexec_b64 s[0:1], s[26:27]
	s_cbranch_execz .LBB3_46
; %bb.43:                               ;   in Loop: Header=BB3_15 Depth=1
	ds_read_u16 v35, v57 offset:100
	ds_read_b32 v42, v57 offset:96
	s_waitcnt lgkmcnt(1)
	v_and_b32_e32 v43, 0xffff, v35
	s_and_saveexec_b64 s[2:3], s[8:9]
	s_cbranch_execz .LBB3_45
; %bb.44:                               ;   in Loop: Header=BB3_15 Depth=1
	ds_read_u16 v35, v61
	s_waitcnt lgkmcnt(0)
	v_perm_b32 v43, v35, v43, s71
.LBB3_45:                               ;   in Loop: Header=BB3_15 Depth=1
	s_or_b64 exec, exec, s[2:3]
.LBB3_46:                               ;   in Loop: Header=BB3_15 Depth=1
	s_or_b64 exec, exec, s[0:1]
	s_waitcnt lgkmcnt(0)
	v_mfma_f32_16x16x16_bf16 v[40:43], v[30:31], v[42:43], v[18:21]
	s_or_b64 s[34:35], s[28:29], s[12:13]
	s_or_b64 s[30:31], s[28:29], s[10:11]
	s_or_b64 s[36:37], s[28:29], s[16:17]
	s_or_b64 s[28:29], s[28:29], s[20:21]
	s_nop 3
	v_cndmask_b32_e64 v20, v41, v82, s[34:35]
	v_cndmask_b32_e64 v40, v40, v82, s[30:31]
	ds_bpermute_b32 v21, v62, v20
	ds_bpermute_b32 v18, v62, v40
	v_max_f32_e32 v35, v20, v20
	v_max_f32_e32 v19, v40, v40
	s_waitcnt lgkmcnt(1)
	v_max_f32_e32 v21, v21, v21
	s_waitcnt lgkmcnt(0)
	v_max_f32_e32 v18, v18, v18
	v_max_f32_e32 v35, v35, v21
	;; [unrolled: 1-line block ×3, first 2 shown]
	ds_bpermute_b32 v41, v63, v35
	ds_bpermute_b32 v19, v63, v18
	v_cndmask_b32_e64 v21, v42, v82, s[36:37]
	s_waitcnt lgkmcnt(1)
	v_max_f32_e32 v41, v41, v41
	s_waitcnt lgkmcnt(0)
	v_max_f32_e32 v19, v19, v19
	v_max_f32_e32 v41, v35, v41
	;; [unrolled: 1-line block ×3, first 2 shown]
	ds_bpermute_b32 v42, v64, v41
	ds_bpermute_b32 v19, v64, v18
	v_cndmask_b32_e64 v35, v43, v82, s[28:29]
	ds_bpermute_b32 v43, v62, v21
	ds_bpermute_b32 v44, v62, v35
	s_waitcnt lgkmcnt(3)
	v_max_f32_e32 v42, v42, v42
	s_waitcnt lgkmcnt(2)
	v_max_f32_e32 v19, v19, v19
	v_max_f32_e32 v41, v41, v42
	;; [unrolled: 1-line block ×3, first 2 shown]
	s_waitcnt lgkmcnt(1)
	v_max_f32_e32 v43, v43, v43
	v_max_f32_e32 v18, v18, v19
	;; [unrolled: 1-line block ×3, first 2 shown]
	ds_bpermute_b32 v19, v65, v18
	ds_bpermute_b32 v43, v63, v42
	v_max_f32_e32 v45, v35, v35
	s_waitcnt lgkmcnt(2)
	v_max_f32_e32 v44, v44, v44
	v_max_f32_e32 v44, v45, v44
	ds_bpermute_b32 v45, v63, v44
	s_waitcnt lgkmcnt(2)
	v_max_f32_e32 v19, v19, v19
	s_waitcnt lgkmcnt(1)
	v_max_f32_e32 v43, v43, v43
	v_max_f32_e32 v18, v18, v19
	ds_bpermute_b32 v19, v65, v41
	v_max_f32_e32 v42, v42, v43
	ds_bpermute_b32 v43, v64, v42
	s_waitcnt lgkmcnt(2)
	v_max_f32_e32 v45, v45, v45
	v_max_f32_e32 v44, v44, v45
	ds_bpermute_b32 v45, v64, v44
	s_waitcnt lgkmcnt(2)
	v_max_f32_e32 v19, v19, v19
	v_max_f32_e32 v19, v41, v19
	s_waitcnt lgkmcnt(1)
	v_max_f32_e32 v41, v43, v43
	v_max_f32_e32 v41, v42, v41
	ds_bpermute_b32 v43, v65, v41
	s_waitcnt lgkmcnt(1)
	v_max_f32_e32 v42, v45, v45
	v_max_f32_e32 v44, v44, v42
	ds_bpermute_b32 v45, v65, v44
	ds_bpermute_b32 v42, v51, v19
	s_waitcnt lgkmcnt(2)
	v_max_f32_e32 v19, v43, v43
	v_max_f32_e32 v19, v41, v19
	ds_bpermute_b32 v41, v51, v19
	s_waitcnt lgkmcnt(2)
	v_max_f32_e32 v19, v45, v45
	v_max_f32_e32 v19, v44, v19
	ds_bpermute_b32 v18, v51, v18
	ds_bpermute_b32 v19, v51, v19
	s_and_saveexec_b64 s[0:1], s[6:7]
	s_cbranch_execz .LBB3_49
; %bb.47:                               ;   in Loop: Header=BB3_15 Depth=1
	ds_read_b96 v[84:86], v78
	s_waitcnt lgkmcnt(2)
	v_max_f32_e32 v18, v18, v18
	v_max_f32_e32 v43, v42, v42
	s_waitcnt lgkmcnt(0)
	v_max_f32_e32 v42, v84, v84
	v_max_f32_e32 v44, v85, v85
	;; [unrolled: 1-line block ×7, first 2 shown]
	ds_write_b96 v77, v[84:86]
	ds_write_b96 v78, v[42:44]
	s_and_b64 exec, exec, s[24:25]
	s_cbranch_execz .LBB3_49
; %bb.48:                               ;   in Loop: Header=BB3_15 Depth=1
	ds_read_b32 v18, v67
	v_max_f32_e32 v19, v19, v19
	s_waitcnt lgkmcnt(0)
	ds_write_b32 v66, v18
	v_max_f32_e32 v18, v18, v18
	v_max_f32_e32 v18, v18, v19
	ds_write_b32 v67, v18
.LBB3_49:                               ;   in Loop: Header=BB3_15 Depth=1
	s_or_b64 exec, exec, s[0:1]
	s_waitcnt lgkmcnt(1)
	v_mov_b32_e32 v18, 0
	s_waitcnt lgkmcnt(0)
	v_mov_b32_e32 v19, 0
	s_barrier
	s_and_saveexec_b64 s[0:1], s[26:27]
	s_cbranch_execz .LBB3_51
; %bb.50:                               ;   in Loop: Header=BB3_15 Depth=1
	ds_read_b32 v19, v78
	s_waitcnt lgkmcnt(0)
	v_sub_f32_e32 v40, v40, v19
	v_mul_f32_e32 v40, 0x3fb8aa3b, v40
	v_exp_f32_e32 v40, v40
	v_cmp_lg_f32_e32 vcc, s72, v19
	s_and_b64 vcc, s[4:5], vcc
	s_nop 0
	v_cndmask_b32_e32 v19, 0, v40, vcc
.LBB3_51:                               ;   in Loop: Header=BB3_15 Depth=1
	s_or_b64 exec, exec, s[0:1]
	ds_bpermute_b32 v40, v62, v19
	s_waitcnt lgkmcnt(0)
	v_add_f32_e32 v40, v19, v40
	ds_bpermute_b32 v41, v63, v40
	s_waitcnt lgkmcnt(0)
	v_add_f32_e32 v40, v40, v41
	ds_bpermute_b32 v41, v64, v40
	s_waitcnt lgkmcnt(0)
	v_add_f32_e32 v40, v40, v41
	ds_bpermute_b32 v41, v65, v40
	s_waitcnt lgkmcnt(0)
	v_add_f32_e32 v40, v40, v41
	ds_bpermute_b32 v42, v51, v40
	s_and_saveexec_b64 s[0:1], s[26:27]
	s_cbranch_execz .LBB3_53
; %bb.52:                               ;   in Loop: Header=BB3_15 Depth=1
	ds_read_b32 v18, v78 offset:4
	s_waitcnt lgkmcnt(0)
	v_sub_f32_e32 v20, v20, v18
	v_mul_f32_e32 v20, 0x3fb8aa3b, v20
	v_exp_f32_e32 v20, v20
	v_cmp_lg_f32_e32 vcc, s72, v18
	s_and_b64 vcc, s[14:15], vcc
	s_nop 0
	v_cndmask_b32_e32 v18, 0, v20, vcc
.LBB3_53:                               ;   in Loop: Header=BB3_15 Depth=1
	s_or_b64 exec, exec, s[0:1]
	ds_bpermute_b32 v20, v62, v18
	s_waitcnt lgkmcnt(0)
	v_add_f32_e32 v20, v18, v20
	ds_bpermute_b32 v40, v63, v20
	s_waitcnt lgkmcnt(0)
	v_add_f32_e32 v20, v20, v40
	ds_bpermute_b32 v40, v64, v20
	s_waitcnt lgkmcnt(0)
	v_add_f32_e32 v20, v20, v40
	ds_bpermute_b32 v40, v65, v20
	s_waitcnt lgkmcnt(0)
	v_add_f32_e32 v20, v20, v40
	ds_bpermute_b32 v41, v51, v20
	v_mov_b32_e32 v20, 0
	s_and_saveexec_b64 s[0:1], s[26:27]
	s_cbranch_execz .LBB3_55
; %bb.54:                               ;   in Loop: Header=BB3_15 Depth=1
	ds_read_b32 v20, v78 offset:8
	s_waitcnt lgkmcnt(0)
	v_sub_f32_e32 v21, v21, v20
	v_mul_f32_e32 v21, 0x3fb8aa3b, v21
	v_exp_f32_e32 v21, v21
	v_cmp_lg_f32_e32 vcc, s72, v20
	s_and_b64 vcc, s[18:19], vcc
	s_nop 0
	v_cndmask_b32_e32 v20, 0, v21, vcc
.LBB3_55:                               ;   in Loop: Header=BB3_15 Depth=1
	s_or_b64 exec, exec, s[0:1]
	ds_bpermute_b32 v21, v62, v20
	v_mov_b32_e32 v43, 0xff800000
	s_waitcnt lgkmcnt(0)
	v_add_f32_e32 v21, v20, v21
	ds_bpermute_b32 v40, v63, v21
	s_waitcnt lgkmcnt(0)
	v_add_f32_e32 v21, v21, v40
	ds_bpermute_b32 v40, v64, v21
	s_waitcnt lgkmcnt(0)
	v_add_f32_e32 v21, v21, v40
	ds_bpermute_b32 v40, v65, v21
	s_waitcnt lgkmcnt(0)
	v_add_f32_e32 v21, v21, v40
	ds_bpermute_b32 v40, v51, v21
	s_and_saveexec_b64 s[0:1], s[24:25]
; %bb.56:                               ;   in Loop: Header=BB3_15 Depth=1
	ds_read_b32 v43, v67
; %bb.57:                               ;   in Loop: Header=BB3_15 Depth=1
	s_or_b64 exec, exec, s[0:1]
	v_mov_b32_e32 v21, 0
	s_and_saveexec_b64 s[0:1], s[26:27]
	s_cbranch_execz .LBB3_59
; %bb.58:                               ;   in Loop: Header=BB3_15 Depth=1
	s_waitcnt lgkmcnt(0)
	v_sub_f32_e32 v21, v35, v43
	v_mul_f32_e32 v21, 0x3fb8aa3b, v21
	v_exp_f32_e32 v21, v21
	v_cmp_lg_f32_e32 vcc, s72, v43
	s_and_b64 vcc, s[22:23], vcc
	s_nop 0
	v_cndmask_b32_e32 v21, 0, v21, vcc
.LBB3_59:                               ;   in Loop: Header=BB3_15 Depth=1
	s_or_b64 exec, exec, s[0:1]
	ds_bpermute_b32 v35, v62, v21
	s_waitcnt lgkmcnt(0)
	v_add_f32_e32 v35, v21, v35
	ds_bpermute_b32 v43, v63, v35
	s_waitcnt lgkmcnt(0)
	v_add_f32_e32 v35, v35, v43
	;; [unrolled: 3-line block ×4, first 2 shown]
	ds_bpermute_b32 v35, v51, v35
	s_and_saveexec_b64 s[2:3], s[6:7]
	s_cbranch_execz .LBB3_96
; %bb.60:                               ;   in Loop: Header=BB3_15 Depth=1
	s_and_saveexec_b64 s[0:1], s[10:11]
	s_xor_b64 s[0:1], exec, s[0:1]
	s_cbranch_execnz .LBB3_78
; %bb.61:                               ;   in Loop: Header=BB3_15 Depth=1
	s_andn2_saveexec_b64 s[26:27], s[0:1]
	s_cbranch_execnz .LBB3_79
.LBB3_62:                               ;   in Loop: Header=BB3_15 Depth=1
	s_or_b64 exec, exec, s[26:27]
	s_and_saveexec_b64 s[0:1], s[12:13]
	s_xor_b64 s[0:1], exec, s[0:1]
	s_cbranch_execnz .LBB3_82
.LBB3_63:                               ;   in Loop: Header=BB3_15 Depth=1
	s_andn2_saveexec_b64 s[26:27], s[0:1]
	s_cbranch_execnz .LBB3_83
.LBB3_64:                               ;   in Loop: Header=BB3_15 Depth=1
	s_or_b64 exec, exec, s[26:27]
	s_and_saveexec_b64 s[0:1], s[16:17]
	s_xor_b64 s[0:1], exec, s[0:1]
	s_cbranch_execnz .LBB3_86
.LBB3_65:                               ;   in Loop: Header=BB3_15 Depth=1
	s_andn2_saveexec_b64 s[26:27], s[0:1]
	s_cbranch_execnz .LBB3_87
.LBB3_66:                               ;   in Loop: Header=BB3_15 Depth=1
	s_or_b64 exec, exec, s[26:27]
	s_and_saveexec_b64 s[0:1], s[20:21]
	s_xor_b64 s[0:1], exec, s[0:1]
	s_cbranch_execnz .LBB3_90
.LBB3_67:                               ;   in Loop: Header=BB3_15 Depth=1
	s_andn2_saveexec_b64 s[0:1], s[0:1]
	s_cbranch_execnz .LBB3_93
	s_branch .LBB3_96
.LBB3_68:                               ;   in Loop: Header=BB3_15 Depth=1
	s_andn2_b64 vcc, exec, s[52:53]
	v_add_u32_e32 v18, s74, v46
	s_cbranch_vccnz .LBB3_76
; %bb.69:                               ;   in Loop: Header=BB3_15 Depth=1
	s_mov_b64 s[2:3], -1
	s_and_b64 vcc, exec, s[54:55]
                                        ; implicit-def: $vgpr19
	s_cbranch_vccz .LBB3_73
; %bb.70:                               ;   in Loop: Header=BB3_15 Depth=1
	v_cmp_le_i32_e32 vcc, s62, v18
	v_mov_b32_e32 v19, v18
	s_and_saveexec_b64 s[2:3], vcc
	s_cbranch_execz .LBB3_72
; %bb.71:                               ;   in Loop: Header=BB3_15 Depth=1
	v_sub_u32_e32 v20, 0, v18
	v_max_i32_e32 v20, v18, v20
	v_mul_hi_u32 v21, v20, v75
	v_mul_lo_u32 v21, v21, s48
	v_sub_u32_e32 v20, v20, v21
	v_subrev_u32_e32 v21, s48, v20
	v_cmp_le_u32_e32 vcc, s48, v20
	v_ashrrev_i32_e32 v19, 31, v18
	s_nop 0
	v_cndmask_b32_e32 v20, v20, v21, vcc
	v_subrev_u32_e32 v21, s48, v20
	v_cmp_le_u32_e32 vcc, s48, v20
	s_nop 1
	v_cndmask_b32_e32 v20, v20, v21, vcc
	v_xor_b32_e32 v20, v20, v19
	v_sub_u32_e32 v19, v20, v19
.LBB3_72:                               ;   in Loop: Header=BB3_15 Depth=1
	s_or_b64 exec, exec, s[2:3]
	s_mov_b64 s[2:3], 0
.LBB3_73:                               ;   in Loop: Header=BB3_15 Depth=1
	s_andn2_b64 vcc, exec, s[2:3]
	s_cbranch_vccnz .LBB3_75
; %bb.74:                               ;   in Loop: Header=BB3_15 Depth=1
	v_and_b32_e32 v19, s67, v18
.LBB3_75:                               ;   in Loop: Header=BB3_15 Depth=1
	v_mov_b32_e32 v18, v19
.LBB3_76:                               ;   in Loop: Header=BB3_15 Depth=1
	s_and_b64 s[2:3], s[40:41], exec
	s_andn2_saveexec_b64 s[0:1], s[0:1]
	s_cbranch_execz .LBB3_17
.LBB3_77:                               ;   in Loop: Header=BB3_15 Depth=1
	s_andn2_b64 s[2:3], s[2:3], exec
	s_and_b64 s[30:31], s[40:41], exec
	v_mov_b32_e32 v18, 0
	s_or_b64 s[2:3], s[2:3], s[30:31]
	s_or_b64 exec, exec, s[0:1]
	s_and_saveexec_b64 s[0:1], s[2:3]
	s_cbranch_execnz .LBB3_18
	s_branch .LBB3_19
.LBB3_78:                               ;   in Loop: Header=BB3_15 Depth=1
	ds_write_b32 v80, v34
	ds_write_b32 v79, v34
                                        ; implicit-def: $vgpr42
	s_andn2_saveexec_b64 s[26:27], s[0:1]
	s_cbranch_execz .LBB3_62
.LBB3_79:                               ;   in Loop: Header=BB3_15 Depth=1
	ds_read_b32 v45, v77
	ds_read_b32 v43, v81
	v_mov_b32_e32 v44, 0
	s_waitcnt lgkmcnt(1)
	v_cmp_neq_f32_e32 vcc, s72, v45
	s_and_saveexec_b64 s[0:1], vcc
	s_cbranch_execz .LBB3_81
; %bb.80:                               ;   in Loop: Header=BB3_15 Depth=1
	ds_read_b32 v44, v78
	s_waitcnt lgkmcnt(0)
	v_sub_f32_e32 v44, v45, v44
	v_mul_f32_e32 v44, 0x3fb8aa3b, v44
	v_exp_f32_e32 v44, v44
.LBB3_81:                               ;   in Loop: Header=BB3_15 Depth=1
	s_or_b64 exec, exec, s[0:1]
	s_waitcnt lgkmcnt(0)
	v_mul_f32_e32 v45, v43, v44
	v_fmac_f32_e32 v42, v43, v44
	v_div_scale_f32 v43, s[0:1], v42, v42, v45
	v_rcp_f32_e32 v44, v43
	s_nop 0
	v_fma_f32 v83, -v43, v44, 1.0
	v_fmac_f32_e32 v44, v83, v44
	v_div_scale_f32 v83, vcc, v45, v42, v45
	v_mul_f32_e32 v84, v83, v44
	v_fma_f32 v85, -v43, v84, v83
	v_fmac_f32_e32 v84, v85, v44
	v_fma_f32 v43, -v43, v84, v83
	v_div_fmas_f32 v43, v43, v44, v84
	v_div_scale_f32 v44, s[0:1], v42, v42, 1.0
	v_rcp_f32_e32 v83, v44
	v_div_fixup_f32 v43, v43, v42, v45
	v_cmp_lt_f32_e64 s[0:1], 0, v42
	v_fma_f32 v45, -v44, v83, 1.0
	v_fmac_f32_e32 v83, v45, v83
	v_div_scale_f32 v45, vcc, 1.0, v42, 1.0
	v_mul_f32_e32 v84, v45, v83
	v_fma_f32 v85, -v44, v84, v45
	v_fmac_f32_e32 v84, v85, v83
	v_fma_f32 v44, -v44, v84, v45
	v_div_fmas_f32 v44, v44, v83, v84
	v_cndmask_b32_e64 v43, 0, v43, s[0:1]
	v_div_fixup_f32 v44, v44, v42, 1.0
	v_cndmask_b32_e64 v44, 0, v44, s[0:1]
	ds_write_b32 v80, v43
	ds_write_b32 v79, v44
	;; [unrolled: 1-line block ×3, first 2 shown]
	s_or_b64 exec, exec, s[26:27]
	s_and_saveexec_b64 s[0:1], s[12:13]
	s_xor_b64 s[0:1], exec, s[0:1]
	s_cbranch_execz .LBB3_63
.LBB3_82:                               ;   in Loop: Header=BB3_15 Depth=1
	ds_write_b32 v80, v34 offset:4
	ds_write_b32 v79, v34 offset:4
                                        ; implicit-def: $vgpr41
	s_andn2_saveexec_b64 s[26:27], s[0:1]
	s_cbranch_execz .LBB3_64
.LBB3_83:                               ;   in Loop: Header=BB3_15 Depth=1
	ds_read_b32 v44, v77 offset:4
	ds_read_b32 v42, v81 offset:4
	v_mov_b32_e32 v43, 0
	s_waitcnt lgkmcnt(1)
	v_cmp_neq_f32_e32 vcc, s72, v44
	s_and_saveexec_b64 s[0:1], vcc
	s_cbranch_execz .LBB3_85
; %bb.84:                               ;   in Loop: Header=BB3_15 Depth=1
	ds_read_b32 v43, v78 offset:4
	s_waitcnt lgkmcnt(0)
	v_sub_f32_e32 v43, v44, v43
	v_mul_f32_e32 v43, 0x3fb8aa3b, v43
	v_exp_f32_e32 v43, v43
.LBB3_85:                               ;   in Loop: Header=BB3_15 Depth=1
	s_or_b64 exec, exec, s[0:1]
	s_waitcnt lgkmcnt(0)
	v_mul_f32_e32 v44, v42, v43
	v_fmac_f32_e32 v41, v42, v43
	v_div_scale_f32 v42, s[0:1], v41, v41, v44
	v_rcp_f32_e32 v43, v42
	s_nop 0
	v_fma_f32 v45, -v42, v43, 1.0
	v_fmac_f32_e32 v43, v45, v43
	v_div_scale_f32 v45, vcc, v44, v41, v44
	v_mul_f32_e32 v83, v45, v43
	v_fma_f32 v84, -v42, v83, v45
	v_fmac_f32_e32 v83, v84, v43
	v_fma_f32 v42, -v42, v83, v45
	v_div_fmas_f32 v42, v42, v43, v83
	v_div_scale_f32 v43, s[0:1], v41, v41, 1.0
	v_rcp_f32_e32 v45, v43
	v_div_fixup_f32 v42, v42, v41, v44
	v_cmp_lt_f32_e64 s[0:1], 0, v41
	v_fma_f32 v44, -v43, v45, 1.0
	v_fmac_f32_e32 v45, v44, v45
	v_div_scale_f32 v44, vcc, 1.0, v41, 1.0
	v_mul_f32_e32 v83, v44, v45
	v_fma_f32 v84, -v43, v83, v44
	v_fmac_f32_e32 v83, v84, v45
	v_fma_f32 v43, -v43, v83, v44
	v_div_fmas_f32 v43, v43, v45, v83
	v_cndmask_b32_e64 v42, 0, v42, s[0:1]
	v_div_fixup_f32 v43, v43, v41, 1.0
	v_cndmask_b32_e64 v43, 0, v43, s[0:1]
	ds_write_b32 v80, v42 offset:4
	ds_write_b32 v79, v43 offset:4
	;; [unrolled: 1-line block ×3, first 2 shown]
	s_or_b64 exec, exec, s[26:27]
	s_and_saveexec_b64 s[0:1], s[16:17]
	s_xor_b64 s[0:1], exec, s[0:1]
	s_cbranch_execz .LBB3_65
.LBB3_86:                               ;   in Loop: Header=BB3_15 Depth=1
	ds_write_b32 v80, v34 offset:8
	ds_write_b32 v79, v34 offset:8
                                        ; implicit-def: $vgpr40
	s_andn2_saveexec_b64 s[26:27], s[0:1]
	s_cbranch_execz .LBB3_66
.LBB3_87:                               ;   in Loop: Header=BB3_15 Depth=1
	ds_read_b32 v43, v77 offset:8
	ds_read_b32 v41, v81 offset:8
	v_mov_b32_e32 v42, 0
	s_waitcnt lgkmcnt(1)
	v_cmp_neq_f32_e32 vcc, s72, v43
	s_and_saveexec_b64 s[0:1], vcc
	s_cbranch_execz .LBB3_89
; %bb.88:                               ;   in Loop: Header=BB3_15 Depth=1
	ds_read_b32 v42, v78 offset:8
	s_waitcnt lgkmcnt(0)
	v_sub_f32_e32 v42, v43, v42
	v_mul_f32_e32 v42, 0x3fb8aa3b, v42
	v_exp_f32_e32 v42, v42
.LBB3_89:                               ;   in Loop: Header=BB3_15 Depth=1
	s_or_b64 exec, exec, s[0:1]
	s_waitcnt lgkmcnt(0)
	v_mul_f32_e32 v43, v41, v42
	v_fmac_f32_e32 v40, v41, v42
	v_div_scale_f32 v41, s[0:1], v40, v40, v43
	v_rcp_f32_e32 v42, v41
	s_nop 0
	v_fma_f32 v44, -v41, v42, 1.0
	v_fmac_f32_e32 v42, v44, v42
	v_div_scale_f32 v44, vcc, v43, v40, v43
	v_mul_f32_e32 v45, v44, v42
	v_fma_f32 v83, -v41, v45, v44
	v_fmac_f32_e32 v45, v83, v42
	v_fma_f32 v41, -v41, v45, v44
	v_div_fmas_f32 v41, v41, v42, v45
	v_div_scale_f32 v42, s[0:1], v40, v40, 1.0
	v_rcp_f32_e32 v44, v42
	v_div_fixup_f32 v41, v41, v40, v43
	v_cmp_lt_f32_e64 s[0:1], 0, v40
	v_fma_f32 v43, -v42, v44, 1.0
	v_fmac_f32_e32 v44, v43, v44
	v_div_scale_f32 v43, vcc, 1.0, v40, 1.0
	v_mul_f32_e32 v45, v43, v44
	v_fma_f32 v83, -v42, v45, v43
	v_fmac_f32_e32 v45, v83, v44
	v_fma_f32 v42, -v42, v45, v43
	v_div_fmas_f32 v42, v42, v44, v45
	v_cndmask_b32_e64 v41, 0, v41, s[0:1]
	v_div_fixup_f32 v42, v42, v40, 1.0
	v_cndmask_b32_e64 v42, 0, v42, s[0:1]
	ds_write_b32 v80, v41 offset:8
	ds_write_b32 v79, v42 offset:8
	;; [unrolled: 1-line block ×3, first 2 shown]
	s_or_b64 exec, exec, s[26:27]
	s_and_saveexec_b64 s[0:1], s[20:21]
	s_xor_b64 s[0:1], exec, s[0:1]
	s_cbranch_execz .LBB3_67
.LBB3_90:                               ;   in Loop: Header=BB3_15 Depth=1
	s_and_saveexec_b64 s[26:27], s[24:25]
	s_cbranch_execz .LBB3_92
; %bb.91:                               ;   in Loop: Header=BB3_15 Depth=1
	ds_write_b32 v69, v34
	ds_write_b32 v68, v34
.LBB3_92:                               ;   in Loop: Header=BB3_15 Depth=1
	s_or_b64 exec, exec, s[26:27]
                                        ; implicit-def: $vgpr35
	s_andn2_saveexec_b64 s[0:1], s[0:1]
	s_cbranch_execz .LBB3_96
.LBB3_93:                               ;   in Loop: Header=BB3_15 Depth=1
	ds_read_b32 v42, v66
	ds_read_b32 v40, v70
	v_mov_b32_e32 v41, 0
	s_waitcnt lgkmcnt(1)
	v_cmp_neq_f32_e32 vcc, s72, v42
	s_and_saveexec_b64 s[0:1], vcc
	s_cbranch_execz .LBB3_95
; %bb.94:                               ;   in Loop: Header=BB3_15 Depth=1
	ds_read_b32 v41, v67
	s_waitcnt lgkmcnt(0)
	v_sub_f32_e32 v41, v42, v41
	v_mul_f32_e32 v41, 0x3fb8aa3b, v41
	v_exp_f32_e32 v41, v41
.LBB3_95:                               ;   in Loop: Header=BB3_15 Depth=1
	s_or_b64 exec, exec, s[0:1]
	s_waitcnt lgkmcnt(0)
	v_mul_f32_e32 v42, v40, v41
	v_fmac_f32_e32 v35, v40, v41
	v_div_scale_f32 v40, s[0:1], v35, v35, v42
	v_rcp_f32_e32 v41, v40
	s_nop 0
	v_fma_f32 v43, -v40, v41, 1.0
	v_fmac_f32_e32 v41, v43, v41
	v_div_scale_f32 v43, vcc, v42, v35, v42
	v_mul_f32_e32 v44, v43, v41
	v_fma_f32 v45, -v40, v44, v43
	v_fmac_f32_e32 v44, v45, v41
	v_fma_f32 v40, -v40, v44, v43
	v_div_fmas_f32 v40, v40, v41, v44
	v_div_scale_f32 v41, s[0:1], v35, v35, 1.0
	v_rcp_f32_e32 v43, v41
	v_div_fixup_f32 v40, v40, v35, v42
	v_cmp_lt_f32_e64 s[0:1], 0, v35
	v_fma_f32 v42, -v41, v43, 1.0
	v_fmac_f32_e32 v43, v42, v43
	v_div_scale_f32 v42, vcc, 1.0, v35, 1.0
	v_mul_f32_e32 v44, v42, v43
	v_fma_f32 v45, -v41, v44, v42
	v_fmac_f32_e32 v44, v45, v43
	v_fma_f32 v41, -v41, v44, v42
	v_div_fmas_f32 v41, v41, v43, v44
	v_cndmask_b32_e64 v40, 0, v40, s[0:1]
	v_div_fixup_f32 v41, v41, v35, 1.0
	v_cndmask_b32_e64 v41, 0, v41, s[0:1]
	ds_write_b32 v69, v40
	ds_write_b32 v68, v41
	;; [unrolled: 1-line block ×3, first 2 shown]
.LBB3_96:                               ;   in Loop: Header=BB3_15 Depth=1
	s_or_b64 exec, exec, s[2:3]
	s_xor_b64 s[30:31], s[30:31], -1
	s_xor_b64 s[26:27], s[34:35], -1
	;; [unrolled: 1-line block ×4, first 2 shown]
	s_waitcnt lgkmcnt(0)
	v_mov_b32_e32 v35, 0
	v_mov_b32_e32 v84, 0
	s_barrier
	s_and_saveexec_b64 s[28:29], s[4:5]
; %bb.97:                               ;   in Loop: Header=BB3_15 Depth=1
	ds_read_b32 v84, v80
; %bb.98:                               ;   in Loop: Header=BB3_15 Depth=1
	s_or_b64 exec, exec, s[28:29]
	s_and_saveexec_b64 s[28:29], s[30:31]
	s_cbranch_execz .LBB3_100
; %bb.99:                               ;   in Loop: Header=BB3_15 Depth=1
	ds_read_b32 v35, v79
	s_waitcnt lgkmcnt(0)
	v_mul_f32_e32 v19, v19, v35
	v_cvt_pk_bf16_f32 v35, v19, s0
.LBB3_100:                              ;   in Loop: Header=BB3_15 Depth=1
	s_or_b64 exec, exec, s[28:29]
	v_mov_b32_e32 v19, 0
	v_mov_b32_e32 v83, 0
	ds_write_b16 v71, v35
	s_and_saveexec_b64 s[28:29], s[14:15]
; %bb.101:                              ;   in Loop: Header=BB3_15 Depth=1
	ds_read_b32 v83, v80 offset:4
; %bb.102:                              ;   in Loop: Header=BB3_15 Depth=1
	s_or_b64 exec, exec, s[28:29]
	s_and_saveexec_b64 s[28:29], s[26:27]
	s_cbranch_execz .LBB3_104
; %bb.103:                              ;   in Loop: Header=BB3_15 Depth=1
	ds_read_b32 v19, v79 offset:4
	s_waitcnt lgkmcnt(0)
	v_mul_f32_e32 v18, v18, v19
	v_cvt_pk_bf16_f32 v19, v18, s0
.LBB3_104:                              ;   in Loop: Header=BB3_15 Depth=1
	s_or_b64 exec, exec, s[28:29]
	v_mov_b32_e32 v18, 0
	v_mov_b32_e32 v85, 0
	ds_write_b16 v71, v19 offset:32
	s_and_saveexec_b64 s[26:27], s[18:19]
; %bb.105:                              ;   in Loop: Header=BB3_15 Depth=1
	ds_read_b32 v85, v80 offset:8
; %bb.106:                              ;   in Loop: Header=BB3_15 Depth=1
	s_or_b64 exec, exec, s[26:27]
	s_and_saveexec_b64 s[26:27], s[2:3]
	s_cbranch_execz .LBB3_108
; %bb.107:                              ;   in Loop: Header=BB3_15 Depth=1
	ds_read_b32 v18, v79 offset:8
	s_waitcnt lgkmcnt(0)
	v_mul_f32_e32 v18, v20, v18
	v_cvt_pk_bf16_f32 v18, v18, s0
.LBB3_108:                              ;   in Loop: Header=BB3_15 Depth=1
	s_or_b64 exec, exec, s[26:27]
	ds_write_b16 v71, v18 offset:64
	v_mov_b32_e32 v18, 0
	v_mov_b32_e32 v86, 0
	s_and_saveexec_b64 s[2:3], s[22:23]
	s_cbranch_execnz .LBB3_138
; %bb.109:                              ;   in Loop: Header=BB3_15 Depth=1
	s_or_b64 exec, exec, s[2:3]
	s_and_saveexec_b64 s[2:3], s[0:1]
	s_cbranch_execnz .LBB3_139
.LBB3_110:                              ;   in Loop: Header=BB3_15 Depth=1
	s_or_b64 exec, exec, s[2:3]
	s_and_saveexec_b64 s[0:1], s[24:25]
.LBB3_111:                              ;   in Loop: Header=BB3_15 Depth=1
	ds_write_b16 v72, v18
.LBB3_112:                              ;   in Loop: Header=BB3_15 Depth=1
	s_or_b64 exec, exec, s[0:1]
	v_mov_b32_e32 v35, v34
	v_mov_b64_e32 v[18:19], v[34:35]
	s_waitcnt lgkmcnt(0)
	s_barrier
	s_and_saveexec_b64 s[0:1], s[38:39]
	s_cbranch_execz .LBB3_119
; %bb.113:                              ;   in Loop: Header=BB3_15 Depth=1
	v_mov_b32_e32 v35, v34
	v_cmp_gt_u32_e32 vcc, s75, v47
	v_mov_b64_e32 v[18:19], v[34:35]
	s_and_saveexec_b64 s[2:3], vcc
	s_cbranch_execnz .LBB3_153
; %bb.114:                              ;   in Loop: Header=BB3_15 Depth=1
	s_or_b64 exec, exec, s[2:3]
	v_cmp_gt_u32_e32 vcc, s76, v49
	s_and_saveexec_b64 s[2:3], vcc
	s_cbranch_execnz .LBB3_154
.LBB3_115:                              ;   in Loop: Header=BB3_15 Depth=1
	s_or_b64 exec, exec, s[2:3]
	v_cmp_gt_u32_e32 vcc, s76, v48
	s_and_saveexec_b64 s[2:3], vcc
	s_cbranch_execnz .LBB3_155
.LBB3_116:                              ;   in Loop: Header=BB3_15 Depth=1
	s_or_b64 exec, exec, s[2:3]
	v_cmp_gt_u32_e32 vcc, s76, v25
	s_and_saveexec_b64 s[2:3], vcc
	s_cbranch_execz .LBB3_118
.LBB3_117:                              ;   in Loop: Header=BB3_15 Depth=1
	ds_read_u16 v20, v74
	s_waitcnt lgkmcnt(0)
	v_perm_b32 v19, v20, v19, s71
.LBB3_118:                              ;   in Loop: Header=BB3_15 Depth=1
	s_or_b64 exec, exec, s[2:3]
.LBB3_119:                              ;   in Loop: Header=BB3_15 Depth=1
	s_or_b64 exec, exec, s[0:1]
	v_mov_b32_e32 v35, v34
	v_cmp_gt_u32_e32 vcc, s75, v47
	v_mov_b64_e32 v[20:21], v[34:35]
	s_and_saveexec_b64 s[0:1], vcc
	s_cbranch_execnz .LBB3_140
; %bb.120:                              ;   in Loop: Header=BB3_15 Depth=1
	s_or_b64 exec, exec, s[0:1]
	v_cmp_gt_u32_e64 s[0:1], s76, v49
	s_and_saveexec_b64 s[2:3], s[0:1]
	s_cbranch_execnz .LBB3_141
.LBB3_121:                              ;   in Loop: Header=BB3_15 Depth=1
	s_or_b64 exec, exec, s[2:3]
	v_cmp_gt_u32_e64 s[2:3], s76, v48
	s_and_saveexec_b64 s[26:27], s[2:3]
	s_cbranch_execnz .LBB3_142
.LBB3_122:                              ;   in Loop: Header=BB3_15 Depth=1
	s_or_b64 exec, exec, s[26:27]
	v_cmp_gt_u32_e64 s[26:27], s76, v25
	s_and_saveexec_b64 s[28:29], s[26:27]
	s_cbranch_execz .LBB3_124
.LBB3_123:                              ;   in Loop: Header=BB3_15 Depth=1
	ds_read_u16 v35, v53
	s_waitcnt lgkmcnt(0)
	v_perm_b32 v21, v35, v21, s71
.LBB3_124:                              ;   in Loop: Header=BB3_15 Depth=1
	s_or_b64 exec, exec, s[28:29]
	v_mov_b32_e32 v35, v34
	v_mov_b64_e32 v[40:41], v[34:35]
	s_and_saveexec_b64 s[28:29], vcc
	s_cbranch_execnz .LBB3_143
; %bb.125:                              ;   in Loop: Header=BB3_15 Depth=1
	s_or_b64 exec, exec, s[28:29]
	s_and_saveexec_b64 s[28:29], s[0:1]
	s_cbranch_execnz .LBB3_144
.LBB3_126:                              ;   in Loop: Header=BB3_15 Depth=1
	s_or_b64 exec, exec, s[28:29]
	s_and_saveexec_b64 s[28:29], s[2:3]
	s_cbranch_execnz .LBB3_145
.LBB3_127:                              ;   in Loop: Header=BB3_15 Depth=1
	s_or_b64 exec, exec, s[28:29]
	s_and_saveexec_b64 s[28:29], s[26:27]
	s_cbranch_execz .LBB3_129
.LBB3_128:                              ;   in Loop: Header=BB3_15 Depth=1
	ds_read_u16 v35, v53 offset:512
	s_waitcnt lgkmcnt(0)
	v_perm_b32 v41, v35, v41, s71
.LBB3_129:                              ;   in Loop: Header=BB3_15 Depth=1
	s_or_b64 exec, exec, s[28:29]
	v_mov_b32_e32 v35, v34
	v_mov_b64_e32 v[42:43], v[34:35]
	s_and_saveexec_b64 s[28:29], vcc
	s_cbranch_execnz .LBB3_146
; %bb.130:                              ;   in Loop: Header=BB3_15 Depth=1
	s_or_b64 exec, exec, s[28:29]
	s_and_saveexec_b64 s[28:29], s[0:1]
	s_cbranch_execnz .LBB3_147
.LBB3_131:                              ;   in Loop: Header=BB3_15 Depth=1
	s_or_b64 exec, exec, s[28:29]
	s_and_saveexec_b64 s[28:29], s[2:3]
	s_cbranch_execnz .LBB3_148
.LBB3_132:                              ;   in Loop: Header=BB3_15 Depth=1
	s_or_b64 exec, exec, s[28:29]
	s_and_saveexec_b64 s[28:29], s[26:27]
	s_cbranch_execz .LBB3_134
.LBB3_133:                              ;   in Loop: Header=BB3_15 Depth=1
	ds_read_u16 v35, v53 offset:1024
	s_waitcnt lgkmcnt(0)
	v_perm_b32 v43, v35, v43, s71
.LBB3_134:                              ;   in Loop: Header=BB3_15 Depth=1
	s_or_b64 exec, exec, s[28:29]
	v_mov_b32_e32 v35, v34
	v_mov_b64_e32 v[44:45], v[34:35]
	s_and_saveexec_b64 s[28:29], vcc
	s_cbranch_execnz .LBB3_149
; %bb.135:                              ;   in Loop: Header=BB3_15 Depth=1
	s_or_b64 exec, exec, s[28:29]
	s_and_saveexec_b64 s[28:29], s[0:1]
	s_cbranch_execnz .LBB3_150
.LBB3_136:                              ;   in Loop: Header=BB3_15 Depth=1
	s_or_b64 exec, exec, s[28:29]
	s_and_saveexec_b64 s[0:1], s[2:3]
	s_cbranch_execnz .LBB3_151
.LBB3_137:                              ;   in Loop: Header=BB3_15 Depth=1
	s_or_b64 exec, exec, s[0:1]
	s_and_saveexec_b64 s[0:1], s[26:27]
	s_cbranch_execz .LBB3_14
	s_branch .LBB3_152
.LBB3_138:                              ;   in Loop: Header=BB3_15 Depth=1
	ds_read_b32 v86, v69
	s_or_b64 exec, exec, s[2:3]
	s_and_saveexec_b64 s[2:3], s[0:1]
	s_cbranch_execz .LBB3_110
.LBB3_139:                              ;   in Loop: Header=BB3_15 Depth=1
	ds_read_b32 v18, v68
	s_waitcnt lgkmcnt(0)
	v_mul_f32_e32 v18, v21, v18
	v_cvt_pk_bf16_f32 v18, v18, s0
	s_or_b64 exec, exec, s[2:3]
	s_and_saveexec_b64 s[0:1], s[24:25]
	s_cbranch_execnz .LBB3_111
	s_branch .LBB3_112
.LBB3_140:                              ;   in Loop: Header=BB3_15 Depth=1
	ds_read_u16 v20, v52
	v_mov_b32_e32 v21, v34
	s_waitcnt lgkmcnt(0)
	v_and_b32_e32 v20, 0xffff, v20
	s_or_b64 exec, exec, s[0:1]
	v_cmp_gt_u32_e64 s[0:1], s76, v49
	s_and_saveexec_b64 s[2:3], s[0:1]
	s_cbranch_execz .LBB3_121
.LBB3_141:                              ;   in Loop: Header=BB3_15 Depth=1
	ds_read_u16 v35, v52 offset:2
	s_waitcnt lgkmcnt(0)
	v_perm_b32 v20, v35, v20, s71
	s_or_b64 exec, exec, s[2:3]
	v_cmp_gt_u32_e64 s[2:3], s76, v48
	s_and_saveexec_b64 s[26:27], s[2:3]
	s_cbranch_execz .LBB3_122
.LBB3_142:                              ;   in Loop: Header=BB3_15 Depth=1
	ds_read_u16 v35, v52 offset:4
	s_waitcnt lgkmcnt(0)
	v_bfi_b32 v21, s73, v35, v21
	s_or_b64 exec, exec, s[26:27]
	v_cmp_gt_u32_e64 s[26:27], s76, v25
	s_and_saveexec_b64 s[28:29], s[26:27]
	s_cbranch_execnz .LBB3_123
	s_branch .LBB3_124
.LBB3_143:                              ;   in Loop: Header=BB3_15 Depth=1
	ds_read_u16 v35, v52 offset:512
	v_mov_b32_e32 v41, v34
	s_waitcnt lgkmcnt(0)
	v_and_b32_e32 v40, 0xffff, v35
	s_or_b64 exec, exec, s[28:29]
	s_and_saveexec_b64 s[28:29], s[0:1]
	s_cbranch_execz .LBB3_126
.LBB3_144:                              ;   in Loop: Header=BB3_15 Depth=1
	ds_read_u16 v35, v52 offset:514
	s_waitcnt lgkmcnt(0)
	v_perm_b32 v40, v35, v40, s71
	s_or_b64 exec, exec, s[28:29]
	s_and_saveexec_b64 s[28:29], s[2:3]
	s_cbranch_execz .LBB3_127
.LBB3_145:                              ;   in Loop: Header=BB3_15 Depth=1
	ds_read_u16 v35, v52 offset:516
	s_waitcnt lgkmcnt(0)
	v_bfi_b32 v41, s73, v35, v41
	s_or_b64 exec, exec, s[28:29]
	s_and_saveexec_b64 s[28:29], s[26:27]
	s_cbranch_execnz .LBB3_128
	s_branch .LBB3_129
.LBB3_146:                              ;   in Loop: Header=BB3_15 Depth=1
	ds_read_u16 v35, v52 offset:1024
	v_mov_b32_e32 v43, v34
	s_waitcnt lgkmcnt(0)
	v_and_b32_e32 v42, 0xffff, v35
	s_or_b64 exec, exec, s[28:29]
	s_and_saveexec_b64 s[28:29], s[0:1]
	s_cbranch_execz .LBB3_131
.LBB3_147:                              ;   in Loop: Header=BB3_15 Depth=1
	ds_read_u16 v35, v52 offset:1026
	s_waitcnt lgkmcnt(0)
	v_perm_b32 v42, v35, v42, s71
	s_or_b64 exec, exec, s[28:29]
	s_and_saveexec_b64 s[28:29], s[2:3]
	s_cbranch_execz .LBB3_132
.LBB3_148:                              ;   in Loop: Header=BB3_15 Depth=1
	ds_read_u16 v35, v52 offset:1028
	s_waitcnt lgkmcnt(0)
	v_bfi_b32 v43, s73, v35, v43
	s_or_b64 exec, exec, s[28:29]
	s_and_saveexec_b64 s[28:29], s[26:27]
	s_cbranch_execnz .LBB3_133
	s_branch .LBB3_134
.LBB3_149:                              ;   in Loop: Header=BB3_15 Depth=1
	ds_read_u16 v35, v54
	v_mov_b32_e32 v45, v34
	s_waitcnt lgkmcnt(0)
	v_and_b32_e32 v44, 0xffff, v35
	s_or_b64 exec, exec, s[28:29]
	s_and_saveexec_b64 s[28:29], s[0:1]
	s_cbranch_execz .LBB3_136
.LBB3_150:                              ;   in Loop: Header=BB3_15 Depth=1
	ds_read_u16 v35, v54 offset:2
	s_waitcnt lgkmcnt(0)
	v_perm_b32 v44, v35, v44, s71
	s_or_b64 exec, exec, s[28:29]
	s_and_saveexec_b64 s[0:1], s[2:3]
	s_cbranch_execz .LBB3_137
.LBB3_151:                              ;   in Loop: Header=BB3_15 Depth=1
	ds_read_u16 v35, v54 offset:4
	s_waitcnt lgkmcnt(0)
	v_bfi_b32 v45, s73, v35, v45
	s_or_b64 exec, exec, s[0:1]
	s_and_saveexec_b64 s[0:1], s[26:27]
	s_cbranch_execz .LBB3_14
.LBB3_152:                              ;   in Loop: Header=BB3_15 Depth=1
	ds_read_u16 v35, v55
	s_waitcnt lgkmcnt(0)
	v_perm_b32 v45, v35, v45, s71
	s_branch .LBB3_14
.LBB3_153:                              ;   in Loop: Header=BB3_15 Depth=1
	ds_read_u16 v18, v73
	v_mov_b32_e32 v19, v34
	s_waitcnt lgkmcnt(0)
	v_and_b32_e32 v18, 0xffff, v18
	s_or_b64 exec, exec, s[2:3]
	v_cmp_gt_u32_e32 vcc, s76, v49
	s_and_saveexec_b64 s[2:3], vcc
	s_cbranch_execz .LBB3_115
.LBB3_154:                              ;   in Loop: Header=BB3_15 Depth=1
	ds_read_u16 v20, v73 offset:2
	s_waitcnt lgkmcnt(0)
	v_perm_b32 v18, v20, v18, s71
	s_or_b64 exec, exec, s[2:3]
	v_cmp_gt_u32_e32 vcc, s76, v48
	s_and_saveexec_b64 s[2:3], vcc
	s_cbranch_execz .LBB3_116
.LBB3_155:                              ;   in Loop: Header=BB3_15 Depth=1
	ds_read_u16 v20, v73 offset:4
	s_waitcnt lgkmcnt(0)
	v_bfi_b32 v19, s73, v20, v19
	s_or_b64 exec, exec, s[2:3]
	v_cmp_gt_u32_e32 vcc, s76, v25
	s_and_saveexec_b64 s[2:3], vcc
	s_cbranch_execnz .LBB3_117
	s_branch .LBB3_118
.LBB3_156:
	v_mov_b32_e32 v14, 0
	v_mov_b32_e32 v15, v14
	;; [unrolled: 1-line block ×4, first 2 shown]
	v_mov_b64_e32 v[2:3], v[14:15]
	v_mov_b64_e32 v[6:7], v[14:15]
	;; [unrolled: 1-line block ×6, first 2 shown]
.LBB3_157:
	s_lshl_b64 s[0:1], s[50:51], 6
	s_waitcnt lgkmcnt(0)
	s_cmp_lg_u64 s[44:45], 0
	s_cbranch_scc0 .LBB3_199
; %bb.158:
	v_cmp_eq_u32_e32 vcc, 0, v46
	s_and_saveexec_b64 s[2:3], vcc
	s_cbranch_execz .LBB3_196
; %bb.159:
	v_cmp_le_u32_e32 vcc, s49, v47
	s_and_saveexec_b64 s[4:5], vcc
	s_xor_b64 s[4:5], exec, s[4:5]
; %bb.160:
	v_mov_b32_e32 v1, 1.0
	ds_write_b32 v24, v1 offset:4928
; %bb.161:
	s_andn2_saveexec_b64 s[4:5], s[4:5]
	s_cbranch_execz .LBB3_167
; %bb.162:
	v_add_u32_e32 v18, s42, v47
	v_ashrrev_i32_e32 v19, 31, v18
	v_lshl_add_u64 v[18:19], v[18:19], 1, s[44:45]
	global_load_ushort v1, v[18:19], off
	s_movk_i32 s6, 0x1f8
	s_waitcnt vmcnt(0)
	v_lshlrev_b32_e32 v1, 16, v1
	v_cmp_class_f32_e64 s[6:7], v1, s6
	s_and_saveexec_b64 s[8:9], s[6:7]
	s_xor_b64 s[6:7], exec, s[8:9]
	s_cbranch_execz .LBB3_164
; %bb.163:
	v_add_u32_e32 v20, 0x1000, v24
	ds_read2_b32 v[18:19], v20 offset0:144 offset1:160
	v_max_f32_e32 v21, v1, v1
	s_mov_b32 s8, 0xff800000
	s_waitcnt lgkmcnt(0)
	v_max_f32_e32 v23, v19, v19
	v_max_f32_e32 v21, v23, v21
	v_sub_f32_e32 v23, v19, v21
	v_sub_f32_e32 v1, v1, v21
	v_mul_f32_e32 v23, 0x3fb8aa3b, v23
	v_exp_f32_e32 v23, v23
	v_mul_f32_e32 v1, 0x3fb8aa3b, v1
	v_exp_f32_e32 v1, v1
	v_cmp_neq_f32_e32 vcc, s8, v19
	s_nop 1
	v_cndmask_b32_e32 v19, 0, v23, vcc
	v_mul_f32_e32 v23, v18, v19
	v_fmac_f32_e32 v1, v18, v19
	v_div_scale_f32 v18, s[8:9], v1, v1, v23
	v_rcp_f32_e32 v19, v18
	v_div_scale_f32 v26, vcc, v23, v1, v23
	v_fma_f32 v27, -v18, v19, 1.0
	v_fmac_f32_e32 v19, v27, v19
	v_mul_f32_e32 v27, v26, v19
	v_fma_f32 v28, -v18, v27, v26
	v_fmac_f32_e32 v27, v28, v19
	v_fma_f32 v18, -v18, v27, v26
	v_div_fmas_f32 v18, v18, v19, v27
	v_div_fixup_f32 v18, v18, v1, v23
	v_cmp_lt_f32_e32 vcc, 0, v1
	s_nop 1
	v_cndmask_b32_e32 v18, 1.0, v18, vcc
	ds_write_b32 v24, v18 offset:4928
	ds_write2_b32 v20, v1, v21 offset0:144 offset1:160
.LBB3_164:
	s_andn2_saveexec_b64 s[6:7], s[6:7]
; %bb.165:
	v_mov_b32_e32 v1, 1.0
	ds_write_b32 v24, v1 offset:4928
; %bb.166:
	s_or_b64 exec, exec, s[6:7]
.LBB3_167:
	s_or_b64 exec, exec, s[4:5]
	v_or_b32_e32 v1, 1, v22
	v_cmp_le_u32_e32 vcc, s33, v1
	s_and_saveexec_b64 s[4:5], vcc
	s_xor_b64 s[4:5], exec, s[4:5]
	s_cbranch_execz .LBB3_171
; %bb.168:
	v_cmp_gt_u32_e32 vcc, 64, v0
	s_and_saveexec_b64 s[6:7], vcc
; %bb.169:
	v_lshlrev_b32_e32 v1, 2, v22
	v_mov_b32_e32 v18, 1.0
	ds_write_b32 v1, v18 offset:4932
; %bb.170:
	s_or_b64 exec, exec, s[6:7]
.LBB3_171:
	s_andn2_saveexec_b64 s[4:5], s[4:5]
	s_cbranch_execz .LBB3_177
; %bb.172:
	s_ashr_i32 s43, s42, 31
	v_mov_b32_e32 v23, 0
	v_lshl_add_u64 v[18:19], v[22:23], 0, s[42:43]
	v_lshl_add_u64 v[18:19], v[18:19], 1, s[44:45]
	global_load_ushort v1, v[18:19], off offset:2
	s_movk_i32 s6, 0x1f8
	s_waitcnt vmcnt(0)
	v_lshlrev_b32_e32 v1, 16, v1
	v_cmp_class_f32_e64 s[6:7], v1, s6
	s_and_saveexec_b64 s[8:9], s[6:7]
	s_xor_b64 s[6:7], exec, s[8:9]
	s_cbranch_execz .LBB3_174
; %bb.173:
	v_lshlrev_b32_e32 v20, 2, v22
	v_add_u32_e32 v21, 0x1000, v20
	ds_read2_b32 v[18:19], v21 offset0:145 offset1:161
	v_max_f32_e32 v23, v1, v1
	s_mov_b32 s8, 0xff800000
	s_waitcnt lgkmcnt(0)
	v_max_f32_e32 v26, v19, v19
	v_max_f32_e32 v23, v26, v23
	v_sub_f32_e32 v26, v19, v23
	v_sub_f32_e32 v1, v1, v23
	v_mul_f32_e32 v26, 0x3fb8aa3b, v26
	v_exp_f32_e32 v26, v26
	v_mul_f32_e32 v1, 0x3fb8aa3b, v1
	v_exp_f32_e32 v1, v1
	v_cmp_neq_f32_e32 vcc, s8, v19
	s_nop 1
	v_cndmask_b32_e32 v19, 0, v26, vcc
	v_mul_f32_e32 v26, v18, v19
	v_fmac_f32_e32 v1, v18, v19
	v_div_scale_f32 v18, s[8:9], v1, v1, v26
	v_rcp_f32_e32 v19, v18
	v_div_scale_f32 v27, vcc, v26, v1, v26
	v_fma_f32 v28, -v18, v19, 1.0
	v_fmac_f32_e32 v19, v28, v19
	v_mul_f32_e32 v28, v27, v19
	v_fma_f32 v29, -v18, v28, v27
	v_fmac_f32_e32 v28, v29, v19
	v_fma_f32 v18, -v18, v28, v27
	v_div_fmas_f32 v18, v18, v19, v28
	v_div_fixup_f32 v18, v18, v1, v26
	v_cmp_lt_f32_e32 vcc, 0, v1
	s_nop 1
	v_cndmask_b32_e32 v18, 1.0, v18, vcc
	ds_write_b32 v20, v18 offset:4932
	ds_write2_b32 v21, v1, v23 offset0:145 offset1:161
.LBB3_174:
	s_andn2_saveexec_b64 s[6:7], s[6:7]
; %bb.175:
	v_lshlrev_b32_e32 v1, 2, v22
	v_mov_b32_e32 v18, 1.0
	ds_write_b32 v1, v18 offset:4932
; %bb.176:
	s_or_b64 exec, exec, s[6:7]
.LBB3_177:
	s_or_b64 exec, exec, s[4:5]
	v_or_b32_e32 v1, 2, v22
	v_cmp_le_u32_e32 vcc, s33, v1
	s_and_saveexec_b64 s[4:5], vcc
	s_xor_b64 s[4:5], exec, s[4:5]
	s_cbranch_execz .LBB3_181
; %bb.178:
	v_cmp_gt_u32_e32 vcc, 64, v0
	s_and_saveexec_b64 s[6:7], vcc
; %bb.179:
	v_lshlrev_b32_e32 v1, 2, v22
	v_mov_b32_e32 v18, 1.0
	ds_write_b32 v1, v18 offset:4936
; %bb.180:
	s_or_b64 exec, exec, s[6:7]
.LBB3_181:
	s_andn2_saveexec_b64 s[4:5], s[4:5]
	s_cbranch_execz .LBB3_187
; %bb.182:
	s_ashr_i32 s43, s42, 31
	v_mov_b32_e32 v23, 0
	v_lshl_add_u64 v[18:19], v[22:23], 0, s[42:43]
	v_lshl_add_u64 v[18:19], v[18:19], 1, s[44:45]
	global_load_ushort v1, v[18:19], off offset:4
	s_movk_i32 s6, 0x1f8
	s_waitcnt vmcnt(0)
	v_lshlrev_b32_e32 v1, 16, v1
	v_cmp_class_f32_e64 s[6:7], v1, s6
	s_and_saveexec_b64 s[8:9], s[6:7]
	s_xor_b64 s[6:7], exec, s[8:9]
	s_cbranch_execz .LBB3_184
; %bb.183:
	v_lshlrev_b32_e32 v20, 2, v22
	v_add_u32_e32 v21, 0x1000, v20
	ds_read2_b32 v[18:19], v21 offset0:146 offset1:162
	v_max_f32_e32 v23, v1, v1
	s_mov_b32 s8, 0xff800000
	s_waitcnt lgkmcnt(0)
	v_max_f32_e32 v26, v19, v19
	v_max_f32_e32 v23, v26, v23
	v_sub_f32_e32 v26, v19, v23
	v_sub_f32_e32 v1, v1, v23
	v_mul_f32_e32 v26, 0x3fb8aa3b, v26
	v_exp_f32_e32 v26, v26
	v_mul_f32_e32 v1, 0x3fb8aa3b, v1
	v_exp_f32_e32 v1, v1
	v_cmp_neq_f32_e32 vcc, s8, v19
	s_nop 1
	v_cndmask_b32_e32 v19, 0, v26, vcc
	v_mul_f32_e32 v26, v18, v19
	v_fmac_f32_e32 v1, v18, v19
	v_div_scale_f32 v18, s[8:9], v1, v1, v26
	v_rcp_f32_e32 v19, v18
	v_div_scale_f32 v27, vcc, v26, v1, v26
	v_fma_f32 v28, -v18, v19, 1.0
	v_fmac_f32_e32 v19, v28, v19
	v_mul_f32_e32 v28, v27, v19
	v_fma_f32 v29, -v18, v28, v27
	v_fmac_f32_e32 v28, v29, v19
	v_fma_f32 v18, -v18, v28, v27
	v_div_fmas_f32 v18, v18, v19, v28
	v_div_fixup_f32 v18, v18, v1, v26
	v_cmp_lt_f32_e32 vcc, 0, v1
	s_nop 1
	v_cndmask_b32_e32 v18, 1.0, v18, vcc
	ds_write_b32 v20, v18 offset:4936
	ds_write2_b32 v21, v1, v23 offset0:146 offset1:162
.LBB3_184:
	s_andn2_saveexec_b64 s[6:7], s[6:7]
; %bb.185:
	v_lshlrev_b32_e32 v1, 2, v22
	v_mov_b32_e32 v18, 1.0
	ds_write_b32 v1, v18 offset:4936
; %bb.186:
	s_or_b64 exec, exec, s[6:7]
.LBB3_187:
	s_or_b64 exec, exec, s[4:5]
	v_cmp_le_u32_e32 vcc, s33, v25
	s_and_saveexec_b64 s[4:5], vcc
	s_xor_b64 s[4:5], exec, s[4:5]
	s_cbranch_execz .LBB3_191
; %bb.188:
	v_cmp_gt_u32_e32 vcc, 64, v0
	s_and_saveexec_b64 s[6:7], vcc
; %bb.189:
	v_lshlrev_b32_e32 v1, 2, v22
	v_mov_b32_e32 v18, 1.0
	ds_write_b32 v1, v18 offset:4940
; %bb.190:
	s_or_b64 exec, exec, s[6:7]
.LBB3_191:
	s_andn2_saveexec_b64 s[4:5], s[4:5]
	s_cbranch_execz .LBB3_196
; %bb.192:
	s_ashr_i32 s43, s42, 31
	v_mov_b32_e32 v23, 0
	v_lshl_add_u64 v[18:19], v[22:23], 0, s[42:43]
	v_lshl_add_u64 v[18:19], v[18:19], 1, s[44:45]
	global_load_ushort v1, v[18:19], off offset:6
	s_movk_i32 s4, 0x1f8
	s_waitcnt vmcnt(0)
	v_lshlrev_b32_e32 v18, 16, v1
	v_cmp_class_f32_e64 s[4:5], v18, s4
	v_lshlrev_b32_e32 v1, 2, v22
	s_and_saveexec_b64 s[6:7], s[4:5]
	s_xor_b64 s[4:5], exec, s[6:7]
	s_cbranch_execz .LBB3_194
; %bb.193:
	v_add_u32_e32 v19, 0x1000, v1
	ds_read2_b32 v[20:21], v19 offset0:147 offset1:163
	v_max_f32_e32 v23, v18, v18
	s_mov_b32 s6, 0xff800000
	s_waitcnt lgkmcnt(0)
	v_max_f32_e32 v26, v21, v21
	v_max_f32_e32 v23, v26, v23
	v_sub_f32_e32 v26, v21, v23
	v_sub_f32_e32 v18, v18, v23
	v_mul_f32_e32 v26, 0x3fb8aa3b, v26
	v_exp_f32_e32 v26, v26
	v_mul_f32_e32 v18, 0x3fb8aa3b, v18
	v_exp_f32_e32 v18, v18
	v_cmp_neq_f32_e32 vcc, s6, v21
	s_nop 1
	v_cndmask_b32_e32 v21, 0, v26, vcc
	v_mul_f32_e32 v26, v20, v21
	v_fmac_f32_e32 v18, v20, v21
	v_div_scale_f32 v20, s[6:7], v18, v18, v26
	v_rcp_f32_e32 v21, v20
	v_div_scale_f32 v27, vcc, v26, v18, v26
	v_fma_f32 v28, -v20, v21, 1.0
	v_fmac_f32_e32 v21, v28, v21
	v_mul_f32_e32 v28, v27, v21
	v_fma_f32 v29, -v20, v28, v27
	v_fmac_f32_e32 v28, v29, v21
	v_fma_f32 v20, -v20, v28, v27
	v_div_fmas_f32 v20, v20, v21, v28
	v_div_fixup_f32 v20, v20, v18, v26
	v_cmp_lt_f32_e32 vcc, 0, v18
	s_nop 1
	v_cndmask_b32_e32 v20, 1.0, v20, vcc
	ds_write_b32 v1, v20 offset:4940
	ds_write2_b32 v19, v18, v23 offset0:147 offset1:163
                                        ; implicit-def: $vgpr1
.LBB3_194:
	s_andn2_saveexec_b64 s[4:5], s[4:5]
; %bb.195:
	v_mov_b32_e32 v18, 1.0
	ds_write_b32 v1, v18 offset:4940
.LBB3_196:
	s_or_b64 exec, exec, s[2:3]
	s_waitcnt lgkmcnt(0)
	s_barrier
	ds_read_b96 v[18:20], v24 offset:4928
	v_cmp_gt_u32_e32 vcc, 64, v0
	v_mov_b32_e32 v1, 1.0
	s_and_saveexec_b64 s[2:3], vcc
; %bb.197:
	v_lshl_or_b32 v1, v22, 2, 12
	ds_read_b32 v1, v1 offset:4928
; %bb.198:
	s_or_b64 exec, exec, s[2:3]
	s_waitcnt lgkmcnt(0)
	v_pk_mul_f32 v[10:11], v[10:11], v[18:19]
	v_pk_mul_f32 v[14:15], v[14:15], v[18:19]
	v_pk_mul_f32 v[2:3], v[2:3], v[18:19]
	v_pk_mul_f32 v[6:7], v[6:7], v[18:19]
	v_mul_f32_e32 v16, v16, v20
	v_mul_f32_e32 v4, v4, v20
	;; [unrolled: 1-line block ×8, first 2 shown]
.LBB3_199:
	s_lshl_b64 s[0:1], s[0:1], 2
	s_add_u32 s0, s46, s0
	v_or_b32_e32 v18, 48, v0
	s_addc_u32 s1, s47, s1
	v_mov_b32_e32 v1, 0
	v_cmp_gt_u32_e32 vcc, s49, v47
	v_lshlrev_b32_e32 v0, 2, v46
	v_lshlrev_b32_e32 v18, 2, v18
	s_and_saveexec_b64 s[2:3], vcc
	s_cbranch_execnz .LBB3_205
; %bb.200:
	s_or_b64 exec, exec, s[2:3]
	v_cmp_gt_u32_e32 vcc, s33, v49
	s_and_saveexec_b64 s[2:3], vcc
	s_cbranch_execnz .LBB3_206
.LBB3_201:
	s_or_b64 exec, exec, s[2:3]
	v_cmp_gt_u32_e32 vcc, s33, v48
	s_and_saveexec_b64 s[2:3], vcc
	s_cbranch_execnz .LBB3_207
.LBB3_202:
	s_or_b64 exec, exec, s[2:3]
	v_cmp_gt_u32_e32 vcc, s33, v25
	s_and_b64 exec, exec, vcc
	s_cbranch_execz .LBB3_204
.LBB3_203:
	v_add_u32_e32 v2, s42, v25
	v_ashrrev_i32_e32 v3, 31, v2
	v_lshlrev_b64 v[2:3], 8, v[2:3]
	v_mov_b32_e32 v1, 0
	v_lshl_add_u64 v[2:3], s[0:1], 0, v[2:3]
	v_mov_b32_e32 v19, v1
	v_lshl_add_u64 v[6:7], v[2:3], 0, v[0:1]
	v_lshl_add_u64 v[0:1], v[2:3], 0, v[18:19]
	global_store_dword v[6:7], v17, off
	global_store_dword v[6:7], v5, off offset:64
	global_store_dword v[6:7], v9, off offset:128
	global_store_dword v[0:1], v13, off
.LBB3_204:
	s_endpgm
.LBB3_205:
	v_add_u32_e32 v20, s42, v47
	v_ashrrev_i32_e32 v21, 31, v20
	v_lshlrev_b64 v[20:21], 8, v[20:21]
	v_lshl_add_u64 v[20:21], s[0:1], 0, v[20:21]
	v_mov_b32_e32 v19, v1
	v_lshl_add_u64 v[22:23], v[20:21], 0, v[0:1]
	v_lshl_add_u64 v[20:21], v[20:21], 0, v[18:19]
	global_store_dword v[22:23], v14, off
	global_store_dword v[22:23], v2, off offset:64
	global_store_dword v[22:23], v6, off offset:128
	global_store_dword v[20:21], v10, off
	s_or_b64 exec, exec, s[2:3]
	v_cmp_gt_u32_e32 vcc, s33, v49
	s_and_saveexec_b64 s[2:3], vcc
	s_cbranch_execz .LBB3_201
.LBB3_206:
	v_add_u32_e32 v20, s42, v49
	v_ashrrev_i32_e32 v21, 31, v20
	v_lshlrev_b64 v[20:21], 8, v[20:21]
	v_lshl_add_u64 v[20:21], s[0:1], 0, v[20:21]
	v_mov_b32_e32 v1, 0
	v_lshl_add_u64 v[22:23], v[20:21], 0, v[0:1]
	v_mov_b32_e32 v19, v1
	global_store_dword v[22:23], v15, off
	global_store_dword v[22:23], v3, off offset:64
	global_store_dword v[22:23], v7, off offset:128
	v_lshl_add_u64 v[2:3], v[20:21], 0, v[18:19]
	global_store_dword v[2:3], v11, off
	s_or_b64 exec, exec, s[2:3]
	v_cmp_gt_u32_e32 vcc, s33, v48
	s_and_saveexec_b64 s[2:3], vcc
	s_cbranch_execz .LBB3_202
.LBB3_207:
	v_add_u32_e32 v2, s42, v48
	v_ashrrev_i32_e32 v3, 31, v2
	v_lshlrev_b64 v[2:3], 8, v[2:3]
	v_mov_b32_e32 v1, 0
	v_lshl_add_u64 v[2:3], s[0:1], 0, v[2:3]
	v_mov_b32_e32 v19, v1
	v_lshl_add_u64 v[6:7], v[2:3], 0, v[0:1]
	v_lshl_add_u64 v[2:3], v[2:3], 0, v[18:19]
	global_store_dword v[6:7], v16, off
	global_store_dword v[6:7], v4, off offset:64
	global_store_dword v[6:7], v8, off offset:128
	global_store_dword v[2:3], v12, off
	s_or_b64 exec, exec, s[2:3]
	v_cmp_gt_u32_e32 vcc, s33, v25
	s_and_b64 exec, exec, vcc
	s_cbranch_execnz .LBB3_203
	s_branch .LBB3_204
	.section	.rodata,"a",@progbits
	.p2align	6, 0x0
	.amdhsa_kernel _Z22fa2_decode_mfma_head64IfLb0ELi16ELi16EEvPKfPKvS3_S1_PK14__hip_bfloat16PfiiiiiiiiPKiS9_xPKxS9_S9_i
		.amdhsa_group_segment_fixed_size 4992
		.amdhsa_private_segment_fixed_size 0
		.amdhsa_kernarg_size 132
		.amdhsa_user_sgpr_count 2
		.amdhsa_user_sgpr_dispatch_ptr 0
		.amdhsa_user_sgpr_queue_ptr 0
		.amdhsa_user_sgpr_kernarg_segment_ptr 1
		.amdhsa_user_sgpr_dispatch_id 0
		.amdhsa_user_sgpr_kernarg_preload_length 0
		.amdhsa_user_sgpr_kernarg_preload_offset 0
		.amdhsa_user_sgpr_private_segment_size 0
		.amdhsa_uses_dynamic_stack 0
		.amdhsa_enable_private_segment 0
		.amdhsa_system_sgpr_workgroup_id_x 1
		.amdhsa_system_sgpr_workgroup_id_y 1
		.amdhsa_system_sgpr_workgroup_id_z 0
		.amdhsa_system_sgpr_workgroup_info 0
		.amdhsa_system_vgpr_workitem_id 0
		.amdhsa_next_free_vgpr 94
		.amdhsa_next_free_sgpr 77
		.amdhsa_accum_offset 96
		.amdhsa_reserve_vcc 1
		.amdhsa_float_round_mode_32 0
		.amdhsa_float_round_mode_16_64 0
		.amdhsa_float_denorm_mode_32 3
		.amdhsa_float_denorm_mode_16_64 3
		.amdhsa_dx10_clamp 1
		.amdhsa_ieee_mode 1
		.amdhsa_fp16_overflow 0
		.amdhsa_tg_split 0
		.amdhsa_exception_fp_ieee_invalid_op 0
		.amdhsa_exception_fp_denorm_src 0
		.amdhsa_exception_fp_ieee_div_zero 0
		.amdhsa_exception_fp_ieee_overflow 0
		.amdhsa_exception_fp_ieee_underflow 0
		.amdhsa_exception_fp_ieee_inexact 0
		.amdhsa_exception_int_div_zero 0
	.end_amdhsa_kernel
	.section	.text._Z22fa2_decode_mfma_head64IfLb0ELi16ELi16EEvPKfPKvS3_S1_PK14__hip_bfloat16PfiiiiiiiiPKiS9_xPKxS9_S9_i,"axG",@progbits,_Z22fa2_decode_mfma_head64IfLb0ELi16ELi16EEvPKfPKvS3_S1_PK14__hip_bfloat16PfiiiiiiiiPKiS9_xPKxS9_S9_i,comdat
.Lfunc_end3:
	.size	_Z22fa2_decode_mfma_head64IfLb0ELi16ELi16EEvPKfPKvS3_S1_PK14__hip_bfloat16PfiiiiiiiiPKiS9_xPKxS9_S9_i, .Lfunc_end3-_Z22fa2_decode_mfma_head64IfLb0ELi16ELi16EEvPKfPKvS3_S1_PK14__hip_bfloat16PfiiiiiiiiPKiS9_xPKxS9_S9_i
                                        ; -- End function
	.set _Z22fa2_decode_mfma_head64IfLb0ELi16ELi16EEvPKfPKvS3_S1_PK14__hip_bfloat16PfiiiiiiiiPKiS9_xPKxS9_S9_i.num_vgpr, 94
	.set _Z22fa2_decode_mfma_head64IfLb0ELi16ELi16EEvPKfPKvS3_S1_PK14__hip_bfloat16PfiiiiiiiiPKiS9_xPKxS9_S9_i.num_agpr, 0
	.set _Z22fa2_decode_mfma_head64IfLb0ELi16ELi16EEvPKfPKvS3_S1_PK14__hip_bfloat16PfiiiiiiiiPKiS9_xPKxS9_S9_i.numbered_sgpr, 77
	.set _Z22fa2_decode_mfma_head64IfLb0ELi16ELi16EEvPKfPKvS3_S1_PK14__hip_bfloat16PfiiiiiiiiPKiS9_xPKxS9_S9_i.num_named_barrier, 0
	.set _Z22fa2_decode_mfma_head64IfLb0ELi16ELi16EEvPKfPKvS3_S1_PK14__hip_bfloat16PfiiiiiiiiPKiS9_xPKxS9_S9_i.private_seg_size, 0
	.set _Z22fa2_decode_mfma_head64IfLb0ELi16ELi16EEvPKfPKvS3_S1_PK14__hip_bfloat16PfiiiiiiiiPKiS9_xPKxS9_S9_i.uses_vcc, 1
	.set _Z22fa2_decode_mfma_head64IfLb0ELi16ELi16EEvPKfPKvS3_S1_PK14__hip_bfloat16PfiiiiiiiiPKiS9_xPKxS9_S9_i.uses_flat_scratch, 0
	.set _Z22fa2_decode_mfma_head64IfLb0ELi16ELi16EEvPKfPKvS3_S1_PK14__hip_bfloat16PfiiiiiiiiPKiS9_xPKxS9_S9_i.has_dyn_sized_stack, 0
	.set _Z22fa2_decode_mfma_head64IfLb0ELi16ELi16EEvPKfPKvS3_S1_PK14__hip_bfloat16PfiiiiiiiiPKiS9_xPKxS9_S9_i.has_recursion, 0
	.set _Z22fa2_decode_mfma_head64IfLb0ELi16ELi16EEvPKfPKvS3_S1_PK14__hip_bfloat16PfiiiiiiiiPKiS9_xPKxS9_S9_i.has_indirect_call, 0
	.section	.AMDGPU.csdata,"",@progbits
; Kernel info:
; codeLenInByte = 9408
; TotalNumSgprs: 83
; NumVgprs: 94
; NumAgprs: 0
; TotalNumVgprs: 94
; ScratchSize: 0
; MemoryBound: 0
; FloatMode: 240
; IeeeMode: 1
; LDSByteSize: 4992 bytes/workgroup (compile time only)
; SGPRBlocks: 10
; VGPRBlocks: 11
; NumSGPRsForWavesPerEU: 83
; NumVGPRsForWavesPerEU: 94
; AccumOffset: 96
; Occupancy: 5
; WaveLimiterHint : 1
; COMPUTE_PGM_RSRC2:SCRATCH_EN: 0
; COMPUTE_PGM_RSRC2:USER_SGPR: 2
; COMPUTE_PGM_RSRC2:TRAP_HANDLER: 0
; COMPUTE_PGM_RSRC2:TGID_X_EN: 1
; COMPUTE_PGM_RSRC2:TGID_Y_EN: 1
; COMPUTE_PGM_RSRC2:TGID_Z_EN: 0
; COMPUTE_PGM_RSRC2:TIDIG_COMP_CNT: 0
; COMPUTE_PGM_RSRC3_GFX90A:ACCUM_OFFSET: 23
; COMPUTE_PGM_RSRC3_GFX90A:TG_SPLIT: 0
	.section	.AMDGPU.gpr_maximums,"",@progbits
	.set amdgpu.max_num_vgpr, 0
	.set amdgpu.max_num_agpr, 0
	.set amdgpu.max_num_sgpr, 0
	.section	.AMDGPU.csdata,"",@progbits
	.type	__hip_cuid_90c7683eb3383257,@object ; @__hip_cuid_90c7683eb3383257
	.section	.bss,"aw",@nobits
	.globl	__hip_cuid_90c7683eb3383257
__hip_cuid_90c7683eb3383257:
	.byte	0                               ; 0x0
	.size	__hip_cuid_90c7683eb3383257, 1

	.ident	"AMD clang version 22.0.0git (https://github.com/RadeonOpenCompute/llvm-project roc-7.2.4 26084 f58b06dce1f9c15707c5f808fd002e18c2accf7e)"
	.section	".note.GNU-stack","",@progbits
	.addrsig
	.addrsig_sym __hip_cuid_90c7683eb3383257
	.amdgpu_metadata
---
amdhsa.kernels:
  - .agpr_count:     0
    .args:
      - .actual_access:  read_only
        .address_space:  global
        .offset:         0
        .size:           8
        .value_kind:     global_buffer
      - .actual_access:  read_only
        .address_space:  global
        .offset:         8
        .size:           8
        .value_kind:     global_buffer
      - .actual_access:  read_only
        .address_space:  global
        .offset:         16
        .size:           8
        .value_kind:     global_buffer
      - .actual_access:  read_only
        .address_space:  global
        .offset:         24
        .size:           8
        .value_kind:     global_buffer
      - .actual_access:  read_only
        .address_space:  global
        .offset:         32
        .size:           8
        .value_kind:     global_buffer
      - .actual_access:  write_only
        .address_space:  global
        .offset:         40
        .size:           8
        .value_kind:     global_buffer
      - .offset:         48
        .size:           4
        .value_kind:     by_value
      - .offset:         52
        .size:           4
        .value_kind:     by_value
      - .offset:         56
        .size:           4
        .value_kind:     by_value
      - .offset:         60
        .size:           4
        .value_kind:     by_value
      - .offset:         64
        .size:           4
        .value_kind:     by_value
      - .offset:         68
        .size:           4
        .value_kind:     by_value
      - .offset:         72
        .size:           4
        .value_kind:     by_value
      - .offset:         76
        .size:           4
        .value_kind:     by_value
      - .actual_access:  read_only
        .address_space:  global
        .offset:         80
        .size:           8
        .value_kind:     global_buffer
      - .actual_access:  read_only
        .address_space:  global
        .offset:         88
        .size:           8
        .value_kind:     global_buffer
      - .offset:         96
        .size:           8
        .value_kind:     by_value
      - .actual_access:  read_only
        .address_space:  global
        .offset:         104
        .size:           8
        .value_kind:     global_buffer
      - .actual_access:  read_only
        .address_space:  global
        .offset:         112
        .size:           8
        .value_kind:     global_buffer
      - .actual_access:  read_only
        .address_space:  global
        .offset:         120
        .size:           8
        .value_kind:     global_buffer
      - .offset:         128
        .size:           4
        .value_kind:     by_value
    .group_segment_fixed_size: 4992
    .kernarg_segment_align: 8
    .kernarg_segment_size: 132
    .language:       OpenCL C
    .language_version:
      - 2
      - 0
    .max_flat_workgroup_size: 1024
    .name:           _Z22fa2_decode_mfma_head64I14__hip_bfloat16Lb1ELi16ELi16EEvPKfPKvS4_S2_PKS0_PfiiiiiiiiPKiS9_xPKxS9_S9_i
    .private_segment_fixed_size: 0
    .sgpr_count:     82
    .sgpr_spill_count: 0
    .symbol:         _Z22fa2_decode_mfma_head64I14__hip_bfloat16Lb1ELi16ELi16EEvPKfPKvS4_S2_PKS0_PfiiiiiiiiPKiS9_xPKxS9_S9_i.kd
    .uniform_work_group_size: 1
    .uses_dynamic_stack: false
    .vgpr_count:     96
    .vgpr_spill_count: 0
    .wavefront_size: 64
  - .agpr_count:     0
    .args:
      - .actual_access:  read_only
        .address_space:  global
        .offset:         0
        .size:           8
        .value_kind:     global_buffer
      - .actual_access:  read_only
        .address_space:  global
        .offset:         8
        .size:           8
        .value_kind:     global_buffer
      - .actual_access:  read_only
        .address_space:  global
        .offset:         16
        .size:           8
        .value_kind:     global_buffer
      - .actual_access:  read_only
        .address_space:  global
        .offset:         24
        .size:           8
        .value_kind:     global_buffer
      - .actual_access:  read_only
        .address_space:  global
        .offset:         32
        .size:           8
        .value_kind:     global_buffer
      - .actual_access:  write_only
        .address_space:  global
        .offset:         40
        .size:           8
        .value_kind:     global_buffer
      - .offset:         48
        .size:           4
        .value_kind:     by_value
      - .offset:         52
        .size:           4
        .value_kind:     by_value
      - .offset:         56
        .size:           4
        .value_kind:     by_value
      - .offset:         60
        .size:           4
        .value_kind:     by_value
      - .offset:         64
        .size:           4
        .value_kind:     by_value
      - .offset:         68
        .size:           4
        .value_kind:     by_value
      - .offset:         72
        .size:           4
        .value_kind:     by_value
      - .offset:         76
        .size:           4
        .value_kind:     by_value
      - .actual_access:  read_only
        .address_space:  global
        .offset:         80
        .size:           8
        .value_kind:     global_buffer
      - .actual_access:  read_only
        .address_space:  global
        .offset:         88
        .size:           8
        .value_kind:     global_buffer
      - .offset:         96
        .size:           8
        .value_kind:     by_value
      - .actual_access:  read_only
        .address_space:  global
        .offset:         104
        .size:           8
        .value_kind:     global_buffer
      - .actual_access:  read_only
        .address_space:  global
        .offset:         112
        .size:           8
        .value_kind:     global_buffer
      - .actual_access:  read_only
        .address_space:  global
        .offset:         120
        .size:           8
        .value_kind:     global_buffer
      - .offset:         128
        .size:           4
        .value_kind:     by_value
    .group_segment_fixed_size: 4992
    .kernarg_segment_align: 8
    .kernarg_segment_size: 132
    .language:       OpenCL C
    .language_version:
      - 2
      - 0
    .max_flat_workgroup_size: 1024
    .name:           _Z22fa2_decode_mfma_head64I14__hip_bfloat16Lb0ELi16ELi16EEvPKfPKvS4_S2_PKS0_PfiiiiiiiiPKiS9_xPKxS9_S9_i
    .private_segment_fixed_size: 0
    .sgpr_count:     83
    .sgpr_spill_count: 0
    .symbol:         _Z22fa2_decode_mfma_head64I14__hip_bfloat16Lb0ELi16ELi16EEvPKfPKvS4_S2_PKS0_PfiiiiiiiiPKiS9_xPKxS9_S9_i.kd
    .uniform_work_group_size: 1
    .uses_dynamic_stack: false
    .vgpr_count:     94
    .vgpr_spill_count: 0
    .wavefront_size: 64
  - .agpr_count:     0
    .args:
      - .actual_access:  read_only
        .address_space:  global
        .offset:         0
        .size:           8
        .value_kind:     global_buffer
      - .actual_access:  read_only
        .address_space:  global
        .offset:         8
        .size:           8
        .value_kind:     global_buffer
      - .actual_access:  read_only
        .address_space:  global
        .offset:         16
        .size:           8
        .value_kind:     global_buffer
      - .actual_access:  read_only
        .address_space:  global
        .offset:         24
        .size:           8
        .value_kind:     global_buffer
      - .actual_access:  read_only
        .address_space:  global
        .offset:         32
        .size:           8
        .value_kind:     global_buffer
      - .actual_access:  write_only
        .address_space:  global
        .offset:         40
        .size:           8
        .value_kind:     global_buffer
      - .offset:         48
        .size:           4
        .value_kind:     by_value
      - .offset:         52
        .size:           4
        .value_kind:     by_value
      - .offset:         56
        .size:           4
        .value_kind:     by_value
      - .offset:         60
        .size:           4
        .value_kind:     by_value
      - .offset:         64
        .size:           4
        .value_kind:     by_value
      - .offset:         68
        .size:           4
        .value_kind:     by_value
      - .offset:         72
        .size:           4
        .value_kind:     by_value
      - .offset:         76
        .size:           4
        .value_kind:     by_value
      - .actual_access:  read_only
        .address_space:  global
        .offset:         80
        .size:           8
        .value_kind:     global_buffer
      - .actual_access:  read_only
        .address_space:  global
        .offset:         88
        .size:           8
        .value_kind:     global_buffer
      - .offset:         96
        .size:           8
        .value_kind:     by_value
      - .actual_access:  read_only
        .address_space:  global
        .offset:         104
        .size:           8
        .value_kind:     global_buffer
      - .actual_access:  read_only
        .address_space:  global
        .offset:         112
        .size:           8
        .value_kind:     global_buffer
      - .actual_access:  read_only
        .address_space:  global
        .offset:         120
        .size:           8
        .value_kind:     global_buffer
      - .offset:         128
        .size:           4
        .value_kind:     by_value
    .group_segment_fixed_size: 4992
    .kernarg_segment_align: 8
    .kernarg_segment_size: 132
    .language:       OpenCL C
    .language_version:
      - 2
      - 0
    .max_flat_workgroup_size: 1024
    .name:           _Z22fa2_decode_mfma_head64IfLb1ELi16ELi16EEvPKfPKvS3_S1_PK14__hip_bfloat16PfiiiiiiiiPKiS9_xPKxS9_S9_i
    .private_segment_fixed_size: 0
    .sgpr_count:     82
    .sgpr_spill_count: 0
    .symbol:         _Z22fa2_decode_mfma_head64IfLb1ELi16ELi16EEvPKfPKvS3_S1_PK14__hip_bfloat16PfiiiiiiiiPKiS9_xPKxS9_S9_i.kd
    .uniform_work_group_size: 1
    .uses_dynamic_stack: false
    .vgpr_count:     96
    .vgpr_spill_count: 0
    .wavefront_size: 64
  - .agpr_count:     0
    .args:
      - .actual_access:  read_only
        .address_space:  global
        .offset:         0
        .size:           8
        .value_kind:     global_buffer
      - .actual_access:  read_only
        .address_space:  global
        .offset:         8
        .size:           8
        .value_kind:     global_buffer
      - .actual_access:  read_only
        .address_space:  global
        .offset:         16
        .size:           8
        .value_kind:     global_buffer
      - .actual_access:  read_only
        .address_space:  global
        .offset:         24
        .size:           8
        .value_kind:     global_buffer
      - .actual_access:  read_only
        .address_space:  global
        .offset:         32
        .size:           8
        .value_kind:     global_buffer
      - .actual_access:  write_only
        .address_space:  global
        .offset:         40
        .size:           8
        .value_kind:     global_buffer
      - .offset:         48
        .size:           4
        .value_kind:     by_value
      - .offset:         52
        .size:           4
        .value_kind:     by_value
      - .offset:         56
        .size:           4
        .value_kind:     by_value
      - .offset:         60
        .size:           4
        .value_kind:     by_value
      - .offset:         64
        .size:           4
        .value_kind:     by_value
      - .offset:         68
        .size:           4
        .value_kind:     by_value
      - .offset:         72
        .size:           4
        .value_kind:     by_value
      - .offset:         76
        .size:           4
        .value_kind:     by_value
      - .actual_access:  read_only
        .address_space:  global
        .offset:         80
        .size:           8
        .value_kind:     global_buffer
      - .actual_access:  read_only
        .address_space:  global
        .offset:         88
        .size:           8
        .value_kind:     global_buffer
      - .offset:         96
        .size:           8
        .value_kind:     by_value
      - .actual_access:  read_only
        .address_space:  global
        .offset:         104
        .size:           8
        .value_kind:     global_buffer
      - .actual_access:  read_only
        .address_space:  global
        .offset:         112
        .size:           8
        .value_kind:     global_buffer
      - .actual_access:  read_only
        .address_space:  global
        .offset:         120
        .size:           8
        .value_kind:     global_buffer
      - .offset:         128
        .size:           4
        .value_kind:     by_value
    .group_segment_fixed_size: 4992
    .kernarg_segment_align: 8
    .kernarg_segment_size: 132
    .language:       OpenCL C
    .language_version:
      - 2
      - 0
    .max_flat_workgroup_size: 1024
    .name:           _Z22fa2_decode_mfma_head64IfLb0ELi16ELi16EEvPKfPKvS3_S1_PK14__hip_bfloat16PfiiiiiiiiPKiS9_xPKxS9_S9_i
    .private_segment_fixed_size: 0
    .sgpr_count:     83
    .sgpr_spill_count: 0
    .symbol:         _Z22fa2_decode_mfma_head64IfLb0ELi16ELi16EEvPKfPKvS3_S1_PK14__hip_bfloat16PfiiiiiiiiPKiS9_xPKxS9_S9_i.kd
    .uniform_work_group_size: 1
    .uses_dynamic_stack: false
    .vgpr_count:     94
    .vgpr_spill_count: 0
    .wavefront_size: 64
amdhsa.target:   amdgcn-amd-amdhsa--gfx950
amdhsa.version:
  - 1
  - 2
...

	.end_amdgpu_metadata
